;; amdgpu-corpus repo=zjin-lcf/HeCBench kind=compiled arch=gfx1100 opt=O3
	.text
	.amdgcn_target "amdgcn-amd-amdhsa--gfx1100"
	.amdhsa_code_object_version 6
	.protected	_Z7kernel1iiiiiiiiiiiiddPKdS0_S0_S0_S0_PdS0_S0_S0_S0_S0_S0_S0_ ; -- Begin function _Z7kernel1iiiiiiiiiiiiddPKdS0_S0_S0_S0_PdS0_S0_S0_S0_S0_S0_S0_
	.globl	_Z7kernel1iiiiiiiiiiiiddPKdS0_S0_S0_S0_PdS0_S0_S0_S0_S0_S0_S0_
	.p2align	8
	.type	_Z7kernel1iiiiiiiiiiiiddPKdS0_S0_S0_S0_PdS0_S0_S0_S0_S0_S0_S0_,@function
_Z7kernel1iiiiiiiiiiiiddPKdS0_S0_S0_S0_PdS0_S0_S0_S0_S0_S0_S0_: ; @_Z7kernel1iiiiiiiiiiiiddPKdS0_S0_S0_S0_PdS0_S0_S0_S0_S0_S0_S0_
; %bb.0:
	s_clause 0x1
	s_load_b256 s[20:27], s[0:1], 0x0
	s_load_b64 s[2:3], s[0:1], 0xb4
	v_and_b32_e32 v91, 0x3ff, v0
	v_bfe_u32 v51, v0, 10, 10
	v_bfe_u32 v0, v0, 20, 10
	s_waitcnt lgkmcnt(0)
	s_delay_alu instid0(VALU_DEP_3)
	v_add_nc_u32_e32 v73, s20, v91
	s_and_b32 s4, s2, 0xffff
	s_lshr_b32 s2, s2, 16
	s_and_b32 s3, s3, 0xffff
	s_mul_i32 s33, s13, s4
	s_mul_i32 s40, s14, s2
	;; [unrolled: 1-line block ×3, first 2 shown]
	v_add_nc_u32_e32 v27, s33, v73
	v_add3_u32 v26, s40, s22, v51
	v_add3_u32 v48, s15, s24, v0
	s_delay_alu instid0(VALU_DEP_3) | instskip(NEXT) | instid1(VALU_DEP_3)
	v_cmp_gt_i32_e32 vcc_lo, s21, v27
	v_cmp_gt_i32_e64 s2, s23, v26
	s_delay_alu instid0(VALU_DEP_3) | instskip(NEXT) | instid1(VALU_DEP_2)
	v_cmp_gt_i32_e64 s3, s25, v48
	s_and_b32 s2, vcc_lo, s2
	s_delay_alu instid0(VALU_DEP_1) | instid1(SALU_CYCLE_1)
	s_and_b32 s2, s2, s3
	s_delay_alu instid0(SALU_CYCLE_1)
	s_and_saveexec_b32 s3, s2
	s_cbranch_execz .LBB0_12
; %bb.1:
	s_clause 0x4
	s_load_b128 s[36:39], s[0:1], 0x98
	s_load_b64 s[24:25], s[0:1], 0x80
	s_load_b256 s[4:11], s[0:1], 0x60
	s_load_b256 s[12:19], s[0:1], 0x40
	s_load_b128 s[28:31], s[0:1], 0x20
	v_subrev_nc_u32_e32 v0, s26, v27
	s_sub_i32 s34, s27, s26
	v_add_nc_u32_e32 v47, -2, v27
	s_not_b32 s23, s34
	s_add_i32 s34, s34, 1
	v_ashrrev_i32_e32 v1, 31, v0
	v_mul_lo_u32 v37, v26, s34
	v_add_nc_u32_e32 v69, -1, v27
	v_add_nc_u32_e32 v71, 1, v27
	v_add_nc_u32_e32 v72, 2, v27
	v_lshlrev_b64 v[0:1], 3, v[0:1]
	s_mov_b32 s35, 1
	s_sub_i32 s43, 0, s26
	s_waitcnt lgkmcnt(0)
	s_delay_alu instid0(VALU_DEP_1) | instskip(NEXT) | instid1(VALU_DEP_2)
	v_add_co_u32 v4, vcc_lo, s36, v0
	v_add_co_ci_u32_e32 v5, vcc_lo, s37, v1, vcc_lo
	s_mul_i32 s23, s23, s28
	s_sub_i32 s3, s31, s30
	s_clause 0x2
	global_load_b64 v[85:86], v[4:5], off offset:16
	global_load_b128 v[0:3], v[4:5], off
	global_load_b128 v[151:154], v[4:5], off offset:-16
	v_subrev_nc_u32_e32 v4, s28, v26
	s_add_i32 s3, s3, 1
	v_add_nc_u32_e32 v26, -2, v26
	s_delay_alu instid0(VALU_DEP_2) | instskip(NEXT) | instid1(VALU_DEP_1)
	v_ashrrev_i32_e32 v5, 31, v4
	v_lshlrev_b64 v[4:5], 3, v[4:5]
	s_delay_alu instid0(VALU_DEP_1) | instskip(NEXT) | instid1(VALU_DEP_2)
	v_add_co_u32 v8, vcc_lo, s38, v4
	v_add_co_ci_u32_e32 v9, vcc_lo, s39, v5, vcc_lo
	s_sub_i32 s39, s29, s28
	s_clause 0x2
	global_load_b64 v[89:90], v[8:9], off offset:16
	global_load_b128 v[4:7], v[8:9], off
	global_load_b128 v[8:11], v[8:9], off offset:-16
	s_add_i32 s39, s39, 1
	s_delay_alu instid0(SALU_CYCLE_1) | instskip(NEXT) | instid1(SALU_CYCLE_1)
	s_mul_i32 s21, s39, s34
	s_mul_i32 s2, s21, s30
	v_mul_lo_u32 v29, v48, s21
	s_add_i32 s2, s2, s26
	s_delay_alu instid0(SALU_CYCLE_1) | instskip(NEXT) | instid1(SALU_CYCLE_1)
	s_sub_i32 s2, s23, s2
	v_add_nc_u32_e32 v30, s2, v27
	s_delay_alu instid0(VALU_DEP_2) | instskip(NEXT) | instid1(VALU_DEP_2)
	v_add3_u32 v45, v29, v37, s2
	v_add_nc_u32_e32 v28, v37, v30
	s_delay_alu instid0(VALU_DEP_1) | instskip(NEXT) | instid1(VALU_DEP_1)
	v_add_nc_u32_e32 v16, v28, v29
	v_ashrrev_i32_e32 v17, 31, v16
	s_delay_alu instid0(VALU_DEP_1) | instskip(NEXT) | instid1(VALU_DEP_1)
	v_lshlrev_b64 v[20:21], 3, v[16:17]
	v_add_co_u32 v16, vcc_lo, s4, v20
	s_delay_alu instid0(VALU_DEP_2) | instskip(SKIP_1) | instid1(SALU_CYCLE_1)
	v_add_co_ci_u32_e32 v17, vcc_lo, s5, v21, vcc_lo
	s_mul_i32 s4, s3, s21
	s_sub_i32 s38, s2, s4
	global_load_b64 v[16:17], v[16:17], off
	s_ashr_i32 s2, s38, 31
	s_ashr_i32 s5, s4, 31
	v_add_nc_u32_e32 v74, s38, v27
	s_lshl_b32 s36, s4, 1
	s_mul_i32 s41, s4, 3
	s_ashr_i32 s37, s36, 31
	s_ashr_i32 s42, s41, 31
	v_add_nc_u32_e32 v108, v37, v74
	s_delay_alu instid0(VALU_DEP_1) | instskip(NEXT) | instid1(VALU_DEP_1)
	v_add_nc_u32_e32 v107, v108, v29
	v_ashrrev_i32_e32 v109, 31, v107
	s_waitcnt vmcnt(0)
	scratch_store_b64 off, v[16:17], off    ; 8-byte Folded Spill
	v_div_scale_f64 v[16:17], null, v[4:5], v[4:5], 1.0
	s_delay_alu instid0(VALU_DEP_1) | instskip(SKIP_2) | instid1(VALU_DEP_1)
	v_rcp_f64_e32 v[18:19], v[16:17]
	s_waitcnt_depctr 0xfff
	v_fma_f64 v[22:23], -v[16:17], v[18:19], 1.0
	v_fma_f64 v[18:19], v[18:19], v[22:23], v[18:19]
	s_delay_alu instid0(VALU_DEP_1) | instskip(NEXT) | instid1(VALU_DEP_1)
	v_fma_f64 v[22:23], -v[16:17], v[18:19], 1.0
	v_fma_f64 v[18:19], v[18:19], v[22:23], v[18:19]
	v_div_scale_f64 v[22:23], vcc_lo, 1.0, v[4:5], 1.0
	s_delay_alu instid0(VALU_DEP_1) | instskip(NEXT) | instid1(VALU_DEP_1)
	v_mul_f64 v[24:25], v[22:23], v[18:19]
	v_fma_f64 v[16:17], -v[16:17], v[24:25], v[22:23]
	s_delay_alu instid0(VALU_DEP_1) | instskip(NEXT) | instid1(VALU_DEP_1)
	v_div_fmas_f64 v[16:17], v[16:17], v[18:19], v[24:25]
	v_div_fixup_f64 v[52:53], v[16:17], v[4:5], 1.0
	v_div_scale_f64 v[16:17], null, v[0:1], v[0:1], 1.0
	s_delay_alu instid0(VALU_DEP_1) | instskip(SKIP_2) | instid1(VALU_DEP_1)
	v_rcp_f64_e32 v[18:19], v[16:17]
	s_waitcnt_depctr 0xfff
	v_fma_f64 v[22:23], -v[16:17], v[18:19], 1.0
	v_fma_f64 v[18:19], v[18:19], v[22:23], v[18:19]
	s_delay_alu instid0(VALU_DEP_1) | instskip(NEXT) | instid1(VALU_DEP_1)
	v_fma_f64 v[22:23], -v[16:17], v[18:19], 1.0
	v_fma_f64 v[18:19], v[18:19], v[22:23], v[18:19]
	v_div_scale_f64 v[22:23], vcc_lo, 1.0, v[0:1], 1.0
	s_delay_alu instid0(VALU_DEP_1) | instskip(NEXT) | instid1(VALU_DEP_1)
	v_mul_f64 v[24:25], v[22:23], v[18:19]
	v_fma_f64 v[16:17], -v[16:17], v[24:25], v[22:23]
	s_delay_alu instid0(VALU_DEP_1) | instskip(NEXT) | instid1(VALU_DEP_1)
	v_div_fmas_f64 v[16:17], v[16:17], v[18:19], v[24:25]
	v_div_fixup_f64 v[54:55], v[16:17], v[0:1], 1.0
	v_add_nc_u32_e32 v16, v45, v47
	s_delay_alu instid0(VALU_DEP_1) | instskip(NEXT) | instid1(VALU_DEP_1)
	v_ashrrev_i32_e32 v17, 31, v16
	v_lshlrev_b64 v[16:17], 3, v[16:17]
	s_delay_alu instid0(VALU_DEP_1) | instskip(NEXT) | instid1(VALU_DEP_2)
	v_add_co_u32 v18, vcc_lo, s14, v16
	v_add_co_ci_u32_e32 v19, vcc_lo, s15, v17, vcc_lo
	v_add_co_u32 v16, vcc_lo, s16, v16
	v_add_co_ci_u32_e32 v17, vcc_lo, s17, v17, vcc_lo
	global_load_b64 v[38:39], v[18:19], off
	v_ashrrev_i32_e32 v18, 31, v27
	v_add_co_u32 v19, vcc_lo, v27, s38
	global_load_b64 v[16:17], v[16:17], off
	v_add_co_ci_u32_e32 v18, vcc_lo, s2, v18, vcc_lo
	v_add_co_u32 v19, vcc_lo, v19, v37
	s_mov_b32 s2, 0x55555555
	s_mov_b32 s3, 0x3fc55555
	v_mul_f64 v[62:63], v[54:55], v[52:53]
	s_waitcnt vmcnt(0)
	scratch_store_b64 off, v[16:17], off offset:544 ; 8-byte Folded Spill
	v_fma_f64 v[22:23], v[38:39], 2.0, v[16:17]
	v_ashrrev_i32_e32 v17, 31, v37
	v_ashrrev_i32_e32 v16, 31, v29
	s_delay_alu instid0(VALU_DEP_2) | instskip(SKIP_1) | instid1(VALU_DEP_2)
	v_add_co_ci_u32_e32 v17, vcc_lo, v18, v17, vcc_lo
	v_add_co_u32 v18, vcc_lo, v19, v29
	v_add_co_ci_u32_e32 v17, vcc_lo, v17, v16, vcc_lo
	s_delay_alu instid0(VALU_DEP_2) | instskip(NEXT) | instid1(VALU_DEP_2)
	v_add_co_u32 v16, vcc_lo, v18, s4
	v_add_co_ci_u32_e32 v17, vcc_lo, s5, v17, vcc_lo
	s_delay_alu instid0(VALU_DEP_1) | instskip(NEXT) | instid1(VALU_DEP_1)
	v_lshlrev_b64 v[16:17], 3, v[16:17]
	v_add_co_u32 v16, vcc_lo, s18, v16
	s_delay_alu instid0(VALU_DEP_2) | instskip(SKIP_3) | instid1(VALU_DEP_1)
	v_add_co_ci_u32_e32 v17, vcc_lo, s19, v17, vcc_lo
	global_load_b128 v[12:15], v[16:17], off offset:-16
	s_waitcnt vmcnt(0)
	v_mul_f64 v[22:23], v[22:23], v[12:13]
	v_mul_f64 v[31:32], v[12:13], v[22:23]
	v_add_nc_u32_e32 v22, v45, v69
	s_delay_alu instid0(VALU_DEP_1) | instskip(NEXT) | instid1(VALU_DEP_1)
	v_ashrrev_i32_e32 v23, 31, v22
	v_lshlrev_b64 v[22:23], 3, v[22:23]
	s_delay_alu instid0(VALU_DEP_1) | instskip(NEXT) | instid1(VALU_DEP_2)
	v_add_co_u32 v24, vcc_lo, s14, v22
	v_add_co_ci_u32_e32 v25, vcc_lo, s15, v23, vcc_lo
	v_add_co_u32 v22, vcc_lo, s16, v22
	v_add_co_ci_u32_e32 v23, vcc_lo, s17, v23, vcc_lo
	global_load_b64 v[116:117], v[24:25], off
	global_load_b64 v[22:23], v[22:23], off
	s_waitcnt vmcnt(0)
	scratch_store_b64 off, v[22:23], off offset:200 ; 8-byte Folded Spill
	v_fma_f64 v[22:23], v[116:117], 2.0, v[22:23]
	scratch_store_b64 off, v[22:23], off offset:192 ; 8-byte Folded Spill
	v_mul_f64 v[22:23], v[22:23], v[14:15]
	s_delay_alu instid0(VALU_DEP_1)
	v_mul_f64 v[33:34], v[14:15], v[22:23]
	v_add_co_u32 v22, vcc_lo, s14, v20
	v_add_co_ci_u32_e32 v23, vcc_lo, s15, v21, vcc_lo
	v_add_co_u32 v20, vcc_lo, s16, v20
	v_add_co_ci_u32_e32 v21, vcc_lo, s17, v21, vcc_lo
	global_load_b64 v[41:42], v[22:23], off
	v_dual_mov_b32 v22, v38 :: v_dual_mov_b32 v23, v39
	global_load_b64 v[20:21], v[20:21], off
	v_add_nc_u32_e32 v39, v45, v71
	v_add_nc_u32_e32 v45, v45, v72
	s_delay_alu instid0(VALU_DEP_2) | instskip(NEXT) | instid1(VALU_DEP_2)
	v_ashrrev_i32_e32 v40, 31, v39
	v_ashrrev_i32_e32 v46, 31, v45
	s_delay_alu instid0(VALU_DEP_2) | instskip(NEXT) | instid1(VALU_DEP_2)
	v_lshlrev_b64 v[39:40], 3, v[39:40]
	v_lshlrev_b64 v[45:46], 3, v[45:46]
	v_mul_f64 v[35:36], v[153:154], v[33:34]
	s_waitcnt vmcnt(0)
	v_fma_f64 v[24:25], v[41:42], 2.0, v[20:21]
	v_add_nc_u32_e32 v20, s4, v107
	s_delay_alu instid0(VALU_DEP_1) | instskip(NEXT) | instid1(VALU_DEP_1)
	v_ashrrev_i32_e32 v21, 31, v20
	v_lshlrev_b64 v[58:59], 3, v[20:21]
	s_delay_alu instid0(VALU_DEP_1) | instskip(NEXT) | instid1(VALU_DEP_2)
	v_add_co_u32 v20, vcc_lo, s18, v58
	v_add_co_ci_u32_e32 v21, vcc_lo, s19, v59, vcc_lo
	v_add_co_u32 v43, vcc_lo, s14, v39
	v_add_co_ci_u32_e32 v44, vcc_lo, s15, v40, vcc_lo
	;; [unrolled: 2-line block ×3, first 2 shown]
	s_clause 0x1
	global_load_b64 v[80:81], v[20:21], off offset:16
	global_load_b128 v[143:146], v[20:21], off
	global_load_b64 v[118:119], v[43:44], off
	v_add_co_u32 v49, vcc_lo, s14, v45
	global_load_b64 v[39:40], v[39:40], off
	v_add_co_ci_u32_e32 v50, vcc_lo, s15, v46, vcc_lo
	v_add_co_u32 v45, vcc_lo, s16, v45
	v_add_co_ci_u32_e32 v46, vcc_lo, s17, v46, vcc_lo
	global_load_b64 v[87:88], v[49:50], off
	scratch_store_b64 off, v[58:59], off offset:8 ; 8-byte Folded Spill
	global_load_b64 v[45:46], v[45:46], off
	s_waitcnt vmcnt(4)
	v_mul_f64 v[24:25], v[24:25], v[143:144]
	s_waitcnt vmcnt(3)
	v_dual_mov_b32 v150, v119 :: v_dual_mov_b32 v149, v118
	s_waitcnt vmcnt(2)
	scratch_store_b64 off, v[39:40], off offset:208 ; 8-byte Folded Spill
	v_fma_f64 v[39:40], v[118:119], 2.0, v[39:40]
	s_waitcnt vmcnt(0)
	scratch_store_b64 off, v[45:46], off offset:88 ; 8-byte Folded Spill
	v_fma_f64 v[45:46], v[87:88], 2.0, v[45:46]
	v_mul_f64 v[24:25], v[143:144], v[24:25]
	scratch_store_b64 off, v[39:40], off offset:456 ; 8-byte Folded Spill
	v_mul_f64 v[39:40], v[39:40], v[145:146]
	scratch_store_b64 off, v[45:46], off offset:104 ; 8-byte Folded Spill
	v_mul_f64 v[45:46], v[45:46], v[80:81]
	v_mul_f64 v[37:38], v[0:1], v[24:25]
	;; [unrolled: 1-line block ×4, first 2 shown]
	s_delay_alu instid0(VALU_DEP_4) | instskip(NEXT) | instid1(VALU_DEP_4)
	v_mul_f64 v[45:46], v[80:81], v[45:46]
	v_fma_f64 v[49:50], v[151:152], v[31:32], v[37:38]
	v_fma_f64 v[33:34], v[153:154], v[33:34], v[37:38]
	s_delay_alu instid0(VALU_DEP_4) | instskip(NEXT) | instid1(VALU_DEP_3)
	v_mul_f64 v[43:44], v[2:3], v[39:40]
	v_fma_f64 v[49:50], 0xbfe80000, v[49:50], v[35:36]
	s_delay_alu instid0(VALU_DEP_2) | instskip(NEXT) | instid1(VALU_DEP_1)
	v_fma_f64 v[31:32], v[151:152], v[31:32], v[43:44]
	v_fma_f64 v[56:57], 0x40080000, v[33:34], v[31:32]
	;; [unrolled: 1-line block ×4, first 2 shown]
	s_delay_alu instid0(VALU_DEP_1) | instskip(SKIP_1) | instid1(VALU_DEP_1)
	v_fma_f64 v[35:36], 0x40080000, v[33:34], v[31:32]
	v_fma_f64 v[31:32], v[85:86], v[45:46], v[37:38]
	;; [unrolled: 1-line block ×3, first 2 shown]
	v_add_co_u32 v31, vcc_lo, s12, v58
	v_add_co_ci_u32_e32 v32, vcc_lo, s13, v59, vcc_lo
	s_clause 0x2
	global_load_b64 v[45:46], v[31:32], off offset:16
	global_load_b128 v[37:40], v[31:32], off
	global_load_b128 v[31:34], v[31:32], off offset:-16
	s_clause 0x2
	scratch_store_b64 off, v[116:117], off offset:184
	scratch_store_b64 off, v[80:81], off offset:392
	;; [unrolled: 1-line block ×3, first 2 shown]
	s_waitcnt vmcnt(0)
	v_add_f64 v[33:34], v[33:34], -v[37:38]
	v_add_f64 v[31:32], v[31:32], -v[37:38]
	s_delay_alu instid0(VALU_DEP_2) | instskip(NEXT) | instid1(VALU_DEP_1)
	v_mul_f64 v[33:34], v[56:57], v[33:34]
	v_fma_f64 v[31:32], v[49:50], v[31:32], v[33:34]
	v_add_f64 v[33:34], v[39:40], -v[37:38]
	s_delay_alu instid0(VALU_DEP_1) | instskip(SKIP_1) | instid1(VALU_DEP_1)
	v_fma_f64 v[31:32], v[35:36], v[33:34], v[31:32]
	v_add_f64 v[33:34], v[45:46], -v[37:38]
	v_fma_f64 v[31:32], v[43:44], v[33:34], v[31:32]
	v_mul_lo_u32 v33, v26, s34
	s_delay_alu instid0(VALU_DEP_1) | instskip(SKIP_3) | instid1(VALU_DEP_4)
	v_add_nc_u32_e32 v70, v29, v33
	v_add3_u32 v92, v33, v74, v29
	v_add_nc_u32_e32 v35, s34, v33
	v_mul_f64 v[33:34], v[41:42], v[143:144]
	v_add_nc_u32_e32 v26, v70, v30
	s_delay_alu instid0(VALU_DEP_3) | instskip(SKIP_2) | instid1(VALU_DEP_4)
	v_add_nc_u32_e32 v93, v29, v35
	v_add3_u32 v106, v35, v74, v29
	v_lshl_add_u32 v35, s34, 1, v35
	v_ashrrev_i32_e32 v27, 31, v26
	s_delay_alu instid0(VALU_DEP_2) | instskip(NEXT) | instid1(VALU_DEP_2)
	v_add_nc_u32_e32 v84, v29, v35
	v_lshlrev_b64 v[26:27], 3, v[26:27]
	v_add3_u32 v110, v35, v74, v29
	v_add_nc_u32_e32 v35, s34, v35
	s_delay_alu instid0(VALU_DEP_4) | instskip(NEXT) | instid1(VALU_DEP_2)
	v_add_nc_u32_e32 v20, v84, v30
	v_add_nc_u32_e32 v68, v29, v35
	v_add3_u32 v111, v35, v74, v29
	s_delay_alu instid0(VALU_DEP_3) | instskip(NEXT) | instid1(VALU_DEP_2)
	v_ashrrev_i32_e32 v21, 31, v20
	v_add_nc_u32_e32 v29, s4, v111
	v_mul_f64 v[31:32], v[31:32], s[2:3]
	s_delay_alu instid0(VALU_DEP_3) | instskip(SKIP_1) | instid1(VALU_DEP_3)
	v_lshlrev_b64 v[49:50], 3, v[20:21]
	v_mul_f64 v[41:42], v[143:144], v[33:34]
	v_fma_f64 v[39:40], v[52:53], v[31:32], 0
	v_add_co_u32 v31, vcc_lo, s14, v26
	v_add_co_ci_u32_e32 v32, vcc_lo, s15, v27, vcc_lo
	global_load_b64 v[100:101], v[31:32], off
	v_add_nc_u32_e32 v31, s4, v92
	v_mul_f64 v[60:61], v[4:5], v[41:42]
	s_delay_alu instid0(VALU_DEP_2) | instskip(NEXT) | instid1(VALU_DEP_1)
	v_ashrrev_i32_e32 v32, 31, v31
	v_lshlrev_b64 v[43:44], 3, v[31:32]
	s_delay_alu instid0(VALU_DEP_1) | instskip(NEXT) | instid1(VALU_DEP_2)
	v_add_co_u32 v31, vcc_lo, s18, v43
	v_add_co_ci_u32_e32 v32, vcc_lo, s19, v44, vcc_lo
	global_load_b64 v[120:121], v[31:32], off
	s_waitcnt vmcnt(0)
	v_mul_f64 v[31:32], v[100:101], v[120:121]
	v_dual_mov_b32 v16, v120 :: v_dual_mov_b32 v17, v121
	s_delay_alu instid0(VALU_DEP_2) | instskip(SKIP_1) | instid1(VALU_DEP_1)
	v_mul_f64 v[94:95], v[120:121], v[31:32]
	v_add_nc_u32_e32 v31, v93, v30
	v_ashrrev_i32_e32 v32, 31, v31
	s_delay_alu instid0(VALU_DEP_1) | instskip(NEXT) | instid1(VALU_DEP_1)
	v_lshlrev_b64 v[45:46], 3, v[31:32]
	v_add_co_u32 v31, vcc_lo, s14, v45
	s_delay_alu instid0(VALU_DEP_2) | instskip(SKIP_2) | instid1(VALU_DEP_1)
	v_add_co_ci_u32_e32 v32, vcc_lo, s15, v46, vcc_lo
	global_load_b64 v[102:103], v[31:32], off
	v_add_nc_u32_e32 v31, s4, v106
	v_ashrrev_i32_e32 v32, 31, v31
	s_delay_alu instid0(VALU_DEP_1) | instskip(NEXT) | instid1(VALU_DEP_1)
	v_lshlrev_b64 v[58:59], 3, v[31:32]
	v_add_co_u32 v31, vcc_lo, s18, v58
	s_delay_alu instid0(VALU_DEP_2)
	v_add_co_ci_u32_e32 v32, vcc_lo, s19, v59, vcc_lo
	v_add_co_u32 v20, vcc_lo, s14, v49
	v_add_co_ci_u32_e32 v21, vcc_lo, s15, v50, vcc_lo
	global_load_b64 v[172:173], v[31:32], off
	global_load_b64 v[98:99], v[20:21], off
	v_add_nc_u32_e32 v20, s4, v110
	s_delay_alu instid0(VALU_DEP_1) | instskip(NEXT) | instid1(VALU_DEP_1)
	v_ashrrev_i32_e32 v21, 31, v20
	v_lshlrev_b64 v[76:77], 3, v[20:21]
	s_delay_alu instid0(VALU_DEP_1) | instskip(NEXT) | instid1(VALU_DEP_2)
	v_add_co_u32 v20, vcc_lo, s18, v76
	v_add_co_ci_u32_e32 v21, vcc_lo, s19, v77, vcc_lo
	global_load_b64 v[20:21], v[20:21], off
	s_waitcnt vmcnt(2)
	v_mul_f64 v[31:32], v[102:103], v[172:173]
	s_waitcnt vmcnt(0)
	v_mul_f64 v[33:34], v[98:99], v[20:21]
	s_delay_alu instid0(VALU_DEP_2) | instskip(NEXT) | instid1(VALU_DEP_2)
	v_mul_f64 v[96:97], v[172:173], v[31:32]
	v_mul_f64 v[112:113], v[20:21], v[33:34]
	v_add_nc_u32_e32 v33, v68, v30
	v_ashrrev_i32_e32 v30, 31, v29
	s_delay_alu instid0(VALU_DEP_2) | instskip(NEXT) | instid1(VALU_DEP_2)
	v_ashrrev_i32_e32 v34, 31, v33
	v_lshlrev_b64 v[82:83], 3, v[29:30]
	s_delay_alu instid0(VALU_DEP_2) | instskip(SKIP_2) | instid1(VALU_DEP_3)
	v_lshlrev_b64 v[56:57], 3, v[33:34]
	v_mul_f64 v[31:32], v[10:11], v[96:97]
	v_fma_f64 v[35:36], v[10:11], v[96:97], v[60:61]
	v_add_co_u32 v33, vcc_lo, s14, v56
	s_delay_alu instid0(VALU_DEP_4)
	v_add_co_ci_u32_e32 v34, vcc_lo, s15, v57, vcc_lo
	v_add_co_u32 v29, vcc_lo, s18, v82
	v_add_co_ci_u32_e32 v30, vcc_lo, s19, v83, vcc_lo
	global_load_b64 v[104:105], v[33:34], off
	v_add_co_u32 v43, vcc_lo, s12, v43
	global_load_b64 v[66:67], v[29:30], off
	v_add_co_ci_u32_e32 v44, vcc_lo, s13, v44, vcc_lo
	v_add_co_u32 v58, vcc_lo, s12, v58
	v_add_co_ci_u32_e32 v59, vcc_lo, s13, v59, vcc_lo
	s_clause 0x1
	global_load_b64 v[43:44], v[43:44], off
	global_load_b64 v[58:59], v[58:59], off
	v_mul_f64 v[78:79], v[6:7], v[112:113]
	s_waitcnt vmcnt(2)
	v_mul_f64 v[29:30], v[104:105], v[66:67]
	s_waitcnt vmcnt(1)
	v_add_f64 v[43:44], v[43:44], -v[37:38]
	s_waitcnt vmcnt(0)
	v_add_f64 v[58:59], v[58:59], -v[37:38]
	s_delay_alu instid0(VALU_DEP_3) | instskip(SKIP_4) | instid1(VALU_DEP_1)
	v_mul_f64 v[114:115], v[66:67], v[29:30]
	v_fma_f64 v[29:30], v[8:9], v[94:95], v[60:61]
	scratch_store_b64 off, v[114:115], off offset:168 ; 8-byte Folded Spill
	v_fma_f64 v[33:34], 0xbfe80000, v[29:30], v[31:32]
	v_fma_f64 v[29:30], v[8:9], v[94:95], v[78:79]
	;; [unrolled: 1-line block ×5, first 2 shown]
	s_delay_alu instid0(VALU_DEP_3) | instskip(NEXT) | instid1(VALU_DEP_2)
	v_mul_f64 v[58:59], v[35:36], v[58:59]
	v_fma_f64 v[31:32], 0x40080000, v[31:32], v[29:30]
	v_fma_f64 v[29:30], v[89:90], v[114:115], v[60:61]
	s_delay_alu instid0(VALU_DEP_3) | instskip(SKIP_2) | instid1(VALU_DEP_4)
	v_fma_f64 v[43:44], v[33:34], v[43:44], v[58:59]
	v_add_co_u32 v58, vcc_lo, s12, v76
	v_add_co_ci_u32_e32 v59, vcc_lo, s13, v77, vcc_lo
	v_fma_f64 v[29:30], 0xbfe80000, v[29:30], v[78:79]
	global_load_b64 v[58:59], v[58:59], off
	s_waitcnt vmcnt(0)
	v_add_f64 v[58:59], v[58:59], -v[37:38]
	s_delay_alu instid0(VALU_DEP_1)
	v_fma_f64 v[43:44], v[31:32], v[58:59], v[43:44]
	v_add_co_u32 v58, vcc_lo, s12, v82
	v_add_co_ci_u32_e32 v59, vcc_lo, s13, v83, vcc_lo
	global_load_b64 v[58:59], v[58:59], off
	s_waitcnt vmcnt(0)
	v_add_f64 v[37:38], v[58:59], -v[37:38]
	v_mul_f64 v[58:59], v[0:1], v[41:42]
	s_delay_alu instid0(VALU_DEP_2) | instskip(NEXT) | instid1(VALU_DEP_1)
	v_fma_f64 v[37:38], v[29:30], v[37:38], v[43:44]
	v_mul_f64 v[37:38], v[37:38], s[2:3]
	s_delay_alu instid0(VALU_DEP_1) | instskip(SKIP_1) | instid1(VALU_DEP_1)
	v_fma_f64 v[64:65], v[54:55], v[37:38], v[39:40]
	v_mul_f64 v[37:38], v[22:23], v[12:13]
	v_mul_f64 v[39:40], v[12:13], v[37:38]
	;; [unrolled: 1-line block ×3, first 2 shown]
	s_delay_alu instid0(VALU_DEP_1)
	v_mul_f64 v[78:79], v[14:15], v[37:38]
	v_mul_f64 v[37:38], v[118:119], v[145:146]
	s_clause 0x2
	scratch_store_b64 off, v[94:95], off offset:112
	scratch_store_b64 off, v[96:97], off offset:128
	;; [unrolled: 1-line block ×3, first 2 shown]
	v_mul_f64 v[82:83], v[145:146], v[37:38]
	v_mul_f64 v[37:38], v[87:88], v[80:81]
	scratch_store_b64 off, v[112:113], off offset:152 ; 8-byte Folded Spill
	v_mul_f64 v[43:44], v[153:154], v[78:79]
	scratch_store_b64 off, v[39:40], off offset:144 ; 8-byte Folded Spill
	v_fma_f64 v[41:42], v[153:154], v[78:79], v[58:59]
	scratch_store_b64 off, v[82:83], off offset:136 ; 8-byte Folded Spill
	v_mul_f64 v[60:61], v[2:3], v[82:83]
	v_mul_f64 v[87:88], v[80:81], v[37:38]
	v_fma_f64 v[37:38], v[151:152], v[39:40], v[58:59]
	s_clause 0x1
	scratch_store_b64 off, v[85:86], off offset:24
	scratch_store_b64 off, v[87:88], off offset:160
	v_fma_f64 v[39:40], v[151:152], v[39:40], v[60:61]
	v_fma_f64 v[37:38], 0xbfe80000, v[37:38], v[43:44]
	s_delay_alu instid0(VALU_DEP_2) | instskip(SKIP_2) | instid1(VALU_DEP_1)
	v_fma_f64 v[39:40], 0x40080000, v[41:42], v[39:40]
	v_fma_f64 v[41:42], v[85:86], v[87:88], v[43:44]
	;; [unrolled: 1-line block ×5, first 2 shown]
	v_add_co_u32 v58, vcc_lo, v107, s36
	v_add_co_ci_u32_e32 v59, vcc_lo, s37, v109, vcc_lo
	s_delay_alu instid0(VALU_DEP_1) | instskip(NEXT) | instid1(VALU_DEP_1)
	v_lshlrev_b64 v[58:59], 3, v[58:59]
	v_add_co_u32 v58, vcc_lo, s12, v58
	s_delay_alu instid0(VALU_DEP_2) | instskip(SKIP_3) | instid1(VALU_DEP_1)
	v_add_co_ci_u32_e32 v59, vcc_lo, s13, v59, vcc_lo
	global_load_b64 v[58:59], v[58:59], off offset:-16
	v_fma_f64 v[43:44], 0xbfe80000, v[43:44], v[60:61]
	v_add_nc_u32_e32 v60, s36, v107
	v_ashrrev_i32_e32 v61, 31, v60
	s_delay_alu instid0(VALU_DEP_1) | instskip(NEXT) | instid1(VALU_DEP_1)
	v_lshlrev_b64 v[18:19], 3, v[60:61]
	v_add_co_u32 v78, vcc_lo, s12, v18
	s_delay_alu instid0(VALU_DEP_2)
	v_add_co_ci_u32_e32 v79, vcc_lo, s13, v19, vcc_lo
	v_add_co_u32 v26, vcc_lo, s16, v26
	v_add_co_ci_u32_e32 v27, vcc_lo, s17, v27, vcc_lo
	s_clause 0x1
	global_load_b128 v[85:88], v[78:79], off offset:8
	global_load_b128 v[94:97], v[78:79], off offset:-8
	v_add_co_u32 v45, vcc_lo, s16, v45
	global_load_b64 v[26:27], v[26:27], off
	v_add_co_ci_u32_e32 v46, vcc_lo, s17, v46, vcc_lo
	v_add_co_u32 v49, vcc_lo, s16, v49
	v_add_co_ci_u32_e32 v50, vcc_lo, s17, v50, vcc_lo
	v_add_co_u32 v56, vcc_lo, s16, v56
	v_add_co_ci_u32_e32 v57, vcc_lo, s17, v57, vcc_lo
	scratch_store_b64 off, v[100:101], off offset:40 ; 8-byte Folded Spill
	s_waitcnt vmcnt(0)
	scratch_store_b64 off, v[26:27], off offset:216 ; 8-byte Folded Spill
	global_load_b64 v[45:46], v[45:46], off
	v_fma_f64 v[26:27], v[100:101], 2.0, v[26:27]
	v_add_f64 v[78:79], v[94:95], -v[96:97]
	v_add_f64 v[58:59], v[58:59], -v[96:97]
	scratch_store_b64 off, v[26:27], off offset:264 ; 8-byte Folded Spill
	v_mul_f64 v[78:79], v[39:40], v[78:79]
	v_mul_f64 v[26:27], v[120:121], v[26:27]
	scratch_store_b64 off, v[102:103], off offset:48 ; 8-byte Folded Spill
	s_waitcnt vmcnt(0)
	scratch_store_b64 off, v[45:46], off offset:224 ; 8-byte Folded Spill
	global_load_b64 v[49:50], v[49:50], off
	v_fma_f64 v[45:46], v[102:103], 2.0, v[45:46]
	v_fma_f64 v[58:59], v[37:38], v[58:59], v[78:79]
	v_add_f64 v[78:79], v[85:86], -v[96:97]
	v_mul_f64 v[26:27], v[120:121], v[26:27]
	scratch_store_b64 off, v[45:46], off offset:256 ; 8-byte Folded Spill
	v_mul_f64 v[45:46], v[172:173], v[45:46]
	v_fma_f64 v[58:59], v[41:42], v[78:79], v[58:59]
	v_add_f64 v[78:79], v[87:88], -v[96:97]
	v_fma_f64 v[85:86], v[8:9], v[26:27], v[24:25]
	scratch_store_b64 off, v[98:99], off offset:32 ; 8-byte Folded Spill
	s_waitcnt vmcnt(0)
	scratch_store_b64 off, v[49:50], off offset:232 ; 8-byte Folded Spill
	v_fma_f64 v[49:50], v[98:99], 2.0, v[49:50]
	scratch_store_b64 off, v[20:21], off offset:384 ; 8-byte Folded Spill
	v_fma_f64 v[58:59], v[43:44], v[78:79], v[58:59]
	v_mul_f64 v[45:46], v[172:173], v[45:46]
	scratch_store_b64 off, v[49:50], off offset:240 ; 8-byte Folded Spill
	v_mul_f64 v[49:50], v[20:21], v[49:50]
	v_mul_f64 v[58:59], v[58:59], s[2:3]
	s_delay_alu instid0(VALU_DEP_2)
	v_mul_f64 v[49:50], v[20:21], v[49:50]
	global_load_b64 v[20:21], v[56:57], off
	v_fma_f64 v[78:79], v[52:53], v[58:59], 0
	v_mul_f64 v[58:59], v[10:11], v[45:46]
	v_fma_f64 v[45:46], v[10:11], v[45:46], v[24:25]
	scratch_store_b64 off, v[104:105], off offset:56 ; 8-byte Folded Spill
	s_waitcnt vmcnt(0)
	scratch_store_b64 off, v[20:21], off offset:432 ; 8-byte Folded Spill
	v_fma_f64 v[56:57], v[104:105], 2.0, v[20:21]
	v_mul_f64 v[82:83], v[6:7], v[49:50]
	v_fma_f64 v[49:50], v[6:7], v[49:50], v[24:25]
	v_fma_f64 v[85:86], 0xbfe80000, v[85:86], v[58:59]
	s_clause 0x6
	scratch_store_b128 off, v[8:11], off offset:400
	scratch_store_b64 off, v[89:90], off offset:16
	scratch_store_b32 off, v92, off offset:64
	scratch_store_b32 off, v106, off offset:68
	;; [unrolled: 1-line block ×4, first 2 shown]
	scratch_store_b64 off, v[56:57], off offset:248
	v_mul_f64 v[56:57], v[66:67], v[56:57]
	v_fma_f64 v[26:27], v[8:9], v[26:27], v[82:83]
	s_delay_alu instid0(VALU_DEP_2) | instskip(NEXT) | instid1(VALU_DEP_2)
	v_mul_f64 v[56:57], v[66:67], v[56:57]
	v_fma_f64 v[26:27], 0x40080000, v[45:46], v[26:27]
	s_delay_alu instid0(VALU_DEP_2) | instskip(SKIP_3) | instid1(VALU_DEP_2)
	v_fma_f64 v[45:46], v[89:90], v[56:57], v[58:59]
	v_fma_f64 v[24:25], v[89:90], v[56:57], v[24:25]
	v_add_nc_u32_e32 v58, s36, v92
	v_add_nc_u32_e32 v92, s23, v73
	v_ashrrev_i32_e32 v59, 31, v58
	s_delay_alu instid0(VALU_DEP_1)
	v_lshlrev_b64 v[56:57], 3, v[58:59]
	scratch_store_b64 off, v[56:57], off offset:288 ; 8-byte Folded Spill
	v_fma_f64 v[45:46], 0x40080000, v[49:50], v[45:46]
	v_add_co_u32 v49, vcc_lo, s12, v56
	v_add_nc_u32_e32 v56, s36, v106
	v_add_co_ci_u32_e32 v50, vcc_lo, s13, v57, vcc_lo
	v_fma_f64 v[24:25], 0xbfe80000, v[24:25], v[82:83]
	s_delay_alu instid0(VALU_DEP_3) | instskip(SKIP_2) | instid1(VALU_DEP_1)
	v_ashrrev_i32_e32 v57, 31, v56
	global_load_b64 v[49:50], v[49:50], off
	v_lshlrev_b64 v[87:88], 3, v[56:57]
	v_add_co_u32 v82, vcc_lo, s12, v87
	s_delay_alu instid0(VALU_DEP_2)
	v_add_co_ci_u32_e32 v83, vcc_lo, s13, v88, vcc_lo
	global_load_b64 v[82:83], v[82:83], off
	s_waitcnt vmcnt(1)
	v_add_f64 v[49:50], v[49:50], -v[96:97]
	s_waitcnt vmcnt(0)
	v_add_f64 v[82:83], v[82:83], -v[96:97]
	s_delay_alu instid0(VALU_DEP_1) | instskip(NEXT) | instid1(VALU_DEP_1)
	v_mul_f64 v[26:27], v[82:83], v[26:27]
	v_fma_f64 v[26:27], v[49:50], v[85:86], v[26:27]
	v_add_nc_u32_e32 v49, s36, v110
	s_delay_alu instid0(VALU_DEP_1) | instskip(NEXT) | instid1(VALU_DEP_1)
	v_ashrrev_i32_e32 v50, 31, v49
	v_lshlrev_b64 v[85:86], 3, v[49:50]
	s_clause 0x1
	scratch_store_b64 off, v[87:88], off offset:280
	scratch_store_b64 off, v[85:86], off offset:272
	v_add_co_u32 v82, vcc_lo, s12, v85
	v_add_co_ci_u32_e32 v83, vcc_lo, s13, v86, vcc_lo
	global_load_b64 v[82:83], v[82:83], off
	s_waitcnt vmcnt(0)
	v_add_f64 v[82:83], v[82:83], -v[96:97]
	s_delay_alu instid0(VALU_DEP_1) | instskip(SKIP_1) | instid1(VALU_DEP_1)
	v_fma_f64 v[26:27], v[82:83], v[45:46], v[26:27]
	v_add_nc_u32_e32 v45, s36, v111
	v_ashrrev_i32_e32 v46, 31, v45
	s_delay_alu instid0(VALU_DEP_1) | instskip(NEXT) | instid1(VALU_DEP_1)
	v_lshlrev_b64 v[85:86], 3, v[45:46]
	v_add_co_u32 v82, vcc_lo, s12, v85
	s_delay_alu instid0(VALU_DEP_2) | instskip(SKIP_4) | instid1(VALU_DEP_1)
	v_add_co_ci_u32_e32 v83, vcc_lo, s13, v86, vcc_lo
	scratch_store_b64 off, v[85:86], off offset:296 ; 8-byte Folded Spill
	global_load_b64 v[82:83], v[82:83], off
	s_waitcnt vmcnt(0)
	v_add_f64 v[82:83], v[82:83], -v[96:97]
	v_fma_f64 v[24:25], v[82:83], v[24:25], v[26:27]
	s_delay_alu instid0(VALU_DEP_1) | instskip(NEXT) | instid1(VALU_DEP_1)
	v_mul_f64 v[24:25], v[24:25], s[2:3]
	v_fma_f64 v[134:135], v[54:55], v[24:25], v[78:79]
	v_add_co_u32 v24, vcc_lo, v107, s41
	v_add_co_ci_u32_e32 v25, vcc_lo, s42, v109, vcc_lo
	s_delay_alu instid0(VALU_DEP_1) | instskip(NEXT) | instid1(VALU_DEP_1)
	v_lshlrev_b64 v[24:25], 3, v[24:25]
	v_add_co_u32 v24, vcc_lo, s12, v24
	s_delay_alu instid0(VALU_DEP_2) | instskip(SKIP_2) | instid1(VALU_DEP_1)
	v_add_co_ci_u32_e32 v25, vcc_lo, s13, v25, vcc_lo
	global_load_b64 v[78:79], v[24:25], off offset:-16
	v_add_nc_u32_e32 v24, s4, v60
	v_ashrrev_i32_e32 v25, 31, v24
	s_delay_alu instid0(VALU_DEP_1) | instskip(NEXT) | instid1(VALU_DEP_1)
	v_lshlrev_b64 v[184:185], 3, v[24:25]
	v_add_co_u32 v24, vcc_lo, s12, v184
	s_delay_alu instid0(VALU_DEP_2)
	v_add_co_ci_u32_e32 v25, vcc_lo, s13, v185, vcc_lo
	s_clause 0x1
	global_load_b128 v[85:88], v[24:25], off offset:8
	global_load_b128 v[24:27], v[24:25], off offset:-8
	s_waitcnt vmcnt(0)
	v_add_f64 v[24:25], v[24:25], -v[26:27]
	v_add_f64 v[59:60], v[78:79], -v[26:27]
	s_delay_alu instid0(VALU_DEP_2) | instskip(NEXT) | instid1(VALU_DEP_1)
	v_mul_f64 v[24:25], v[39:40], v[24:25]
	v_fma_f64 v[24:25], v[37:38], v[59:60], v[24:25]
	v_add_f64 v[37:38], v[85:86], -v[26:27]
	s_delay_alu instid0(VALU_DEP_1) | instskip(SKIP_1) | instid1(VALU_DEP_1)
	v_fma_f64 v[24:25], v[41:42], v[37:38], v[24:25]
	v_add_f64 v[37:38], v[87:88], -v[26:27]
	v_fma_f64 v[24:25], v[43:44], v[37:38], v[24:25]
	v_add_nc_u32_e32 v37, s4, v58
	s_delay_alu instid0(VALU_DEP_1) | instskip(NEXT) | instid1(VALU_DEP_1)
	v_ashrrev_i32_e32 v38, 31, v37
	v_lshlrev_b64 v[38:39], 3, v[37:38]
	s_delay_alu instid0(VALU_DEP_1)
	v_add_co_u32 v37, vcc_lo, s12, v38
	scratch_store_b64 off, v[38:39], off offset:312 ; 8-byte Folded Spill
	v_add_co_ci_u32_e32 v38, vcc_lo, s13, v39, vcc_lo
	v_add_nc_u32_e32 v39, s4, v56
	global_load_b64 v[37:38], v[37:38], off
	v_ashrrev_i32_e32 v40, 31, v39
	s_delay_alu instid0(VALU_DEP_1) | instskip(NEXT) | instid1(VALU_DEP_1)
	v_lshlrev_b64 v[40:41], 3, v[39:40]
	v_add_co_u32 v39, vcc_lo, s12, v40
	scratch_store_b64 off, v[40:41], off offset:328 ; 8-byte Folded Spill
	v_add_co_ci_u32_e32 v40, vcc_lo, s13, v41, vcc_lo
	v_mul_f64 v[24:25], v[24:25], s[2:3]
	v_add_nc_u32_e32 v41, -1, v48
	global_load_b64 v[39:40], v[39:40], off
	v_fma_f64 v[24:25], v[52:53], v[24:25], 0
	s_waitcnt vmcnt(1)
	v_add_f64 v[37:38], v[37:38], -v[26:27]
	s_waitcnt vmcnt(0)
	v_add_f64 v[39:40], v[39:40], -v[26:27]
	s_delay_alu instid0(VALU_DEP_1) | instskip(NEXT) | instid1(VALU_DEP_1)
	v_mul_f64 v[35:36], v[35:36], v[39:40]
	v_fma_f64 v[33:34], v[33:34], v[37:38], v[35:36]
	v_add_nc_u32_e32 v35, s4, v49
	s_delay_alu instid0(VALU_DEP_1) | instskip(NEXT) | instid1(VALU_DEP_1)
	v_ashrrev_i32_e32 v36, 31, v35
	v_lshlrev_b64 v[36:37], 3, v[35:36]
	s_delay_alu instid0(VALU_DEP_1)
	v_add_co_u32 v35, vcc_lo, s12, v36
	scratch_store_b64 off, v[36:37], off offset:304 ; 8-byte Folded Spill
	v_add_co_ci_u32_e32 v36, vcc_lo, s13, v37, vcc_lo
	global_load_b64 v[35:36], v[35:36], off
	s_waitcnt vmcnt(0)
	v_add_f64 v[35:36], v[35:36], -v[26:27]
	s_delay_alu instid0(VALU_DEP_1) | instskip(SKIP_1) | instid1(VALU_DEP_1)
	v_fma_f64 v[31:32], v[31:32], v[35:36], v[33:34]
	v_add_nc_u32_e32 v33, s4, v45
	v_ashrrev_i32_e32 v34, 31, v33
	s_delay_alu instid0(VALU_DEP_1) | instskip(NEXT) | instid1(VALU_DEP_1)
	v_lshlrev_b64 v[34:35], 3, v[33:34]
	v_add_co_u32 v33, vcc_lo, s12, v34
	scratch_store_b64 off, v[34:35], off offset:320 ; 8-byte Folded Spill
	v_add_co_ci_u32_e32 v34, vcc_lo, s13, v35, vcc_lo
	global_load_b64 v[33:34], v[33:34], off
	s_waitcnt vmcnt(0)
	v_add_f64 v[26:27], v[33:34], -v[26:27]
	s_delay_alu instid0(VALU_DEP_1) | instskip(NEXT) | instid1(VALU_DEP_1)
	v_fma_f64 v[26:27], v[29:30], v[26:27], v[31:32]
	v_mul_f64 v[26:27], v[26:27], s[2:3]
	s_add_i32 s2, s22, s29
	s_lshl_b32 s3, s31, 1
	s_mul_i32 s22, s30, 3
	v_add3_u32 v142, s40, s2, v51
	s_sub_i32 s3, s3, s22
	s_mul_i32 s2, s31, 3
	s_add_i32 s3, s3, 2
	s_delay_alu instid0(VALU_DEP_1) | instid1(SALU_CYCLE_1)
	v_mad_u64_u32 v[88:89], null, s3, s39, v[142:143]
	s_lshl_b32 s3, s30, 2
	s_delay_alu instid0(SALU_CYCLE_1) | instskip(SKIP_2) | instid1(VALU_DEP_3)
	s_sub_i32 s2, s2, s3
	s_mul_i32 s3, s30, s39
	s_add_i32 s2, s2, 3
	v_fma_f64 v[160:161], v[54:55], v[26:27], v[24:25]
	s_delay_alu instid0(VALU_DEP_2) | instskip(NEXT) | instid1(VALU_DEP_1)
	v_subrev_nc_u32_e32 v24, s28, v88
	v_mul_lo_u32 v24, s34, v24
	s_delay_alu instid0(VALU_DEP_1) | instskip(SKIP_4) | instid1(SALU_CYCLE_1)
	v_add3_u32 v24, v24, s34, v92
	scratch_store_b32 off, v24, off offset:336 ; 4-byte Folded Spill
	v_add_nc_u32_e32 v37, s33, v24
	v_mad_u64_u32 v[24:25], null, s2, s39, v[142:143]
	s_lshl_b32 s2, s30, 1
	s_sub_i32 s2, s31, s2
	s_delay_alu instid0(SALU_CYCLE_1) | instskip(NEXT) | instid1(VALU_DEP_1)
	s_add_i32 s2, s2, 1
	v_subrev_nc_u32_e32 v24, s28, v24
	v_mad_u64_u32 v[86:87], null, s39, s2, v[142:143]
	s_delay_alu instid0(VALU_DEP_2) | instskip(NEXT) | instid1(VALU_DEP_1)
	v_mul_lo_u32 v24, s34, v24
	v_add3_u32 v24, v24, s34, v92
	scratch_store_b32 off, v24, off offset:340 ; 4-byte Folded Spill
	v_add_nc_u32_e32 v38, s33, v24
	v_subrev_nc_u32_e32 v24, s28, v86
	s_delay_alu instid0(VALU_DEP_1) | instskip(NEXT) | instid1(VALU_DEP_1)
	v_mul_lo_u32 v24, s34, v24
	v_add3_u32 v24, v24, s34, v92
	scratch_store_b32 off, v24, off offset:344 ; 4-byte Folded Spill
	v_add_nc_u32_e32 v39, s33, v24
	v_subrev_nc_u32_e32 v24, s3, v142
	s_delay_alu instid0(VALU_DEP_1) | instskip(NEXT) | instid1(VALU_DEP_1)
	v_subrev_nc_u32_e32 v24, s28, v24
	v_mul_lo_u32 v24, s34, v24
	s_delay_alu instid0(VALU_DEP_1) | instskip(NEXT) | instid1(VALU_DEP_1)
	v_add3_u32 v24, v24, s34, v92
	v_add_nc_u32_e32 v40, s33, v24
	scratch_store_b32 off, v24, off offset:348 ; 4-byte Folded Spill
.LBB0_2:                                ; =>This Loop Header: Depth=1
                                        ;     Child Loop BB0_3 Depth 2
	v_dual_mov_b32 v24, 0 :: v_dual_mov_b32 v43, v39
	v_dual_mov_b32 v25, 0 :: v_dual_mov_b32 v42, v40
	;; [unrolled: 1-line block ×3, first 2 shown]
	s_mov_b32 s22, 0
	s_delay_alu instid0(VALU_DEP_2)
	v_dual_mov_b32 v34, v25 :: v_dual_mov_b32 v33, v24
	v_dual_mov_b32 v32, v25 :: v_dual_mov_b32 v31, v24
	;; [unrolled: 1-line block ×5, first 2 shown]
.LBB0_3:                                ;   Parent Loop BB0_2 Depth=1
                                        ; =>  This Inner Loop Header: Depth=2
	v_add_nc_u32_e32 v49, s22, v41
	v_add_nc_u32_e32 v56, s43, v42
	;; [unrolled: 1-line block ×5, first 2 shown]
	v_ashrrev_i32_e32 v50, 31, v49
	v_ashrrev_i32_e32 v57, 31, v56
	;; [unrolled: 1-line block ×5, first 2 shown]
	v_lshlrev_b64 v[49:50], 3, v[49:50]
	v_lshlrev_b64 v[56:57], 3, v[56:57]
	;; [unrolled: 1-line block ×5, first 2 shown]
	v_add_nc_u32_e32 v45, s21, v45
	v_add_co_u32 v49, vcc_lo, s8, v49
	v_add_co_ci_u32_e32 v50, vcc_lo, s9, v50, vcc_lo
	v_add_co_u32 v78, s2, s14, v56
	v_add_co_u32 v56, vcc_lo, s16, v56
	v_add_co_ci_u32_e64 v79, s2, s15, v57, s2
	v_add_co_ci_u32_e32 v57, vcc_lo, s17, v57, vcc_lo
	v_add_co_u32 v58, vcc_lo, s18, v58
	v_add_co_ci_u32_e32 v59, vcc_lo, s19, v59, vcc_lo
	v_add_co_u32 v60, vcc_lo, s18, v60
	v_add_co_ci_u32_e32 v61, vcc_lo, s19, v61, vcc_lo
	v_add_co_u32 v82, vcc_lo, s18, v82
	v_add_co_ci_u32_e32 v83, vcc_lo, s19, v83, vcc_lo
	global_load_b64 v[58:59], v[58:59], off
	global_load_b64 v[78:79], v[78:79], off
	;; [unrolled: 1-line block ×3, first 2 shown]
	s_clause 0x1
	global_load_b64 v[60:61], v[60:61], off
	global_load_b64 v[82:83], v[82:83], off
	global_load_b64 v[49:50], v[49:50], off
	v_add_nc_u32_e32 v44, s21, v44
	v_add_nc_u32_e32 v43, s21, v43
	;; [unrolled: 1-line block ×3, first 2 shown]
	s_add_i32 s22, s22, 48
	s_delay_alu instid0(SALU_CYCLE_1)
	s_cmpk_eq_i32 s22, 0x180
	s_waitcnt vmcnt(5)
	v_mul_f64 v[89:90], v[0:1], v[58:59]
	s_waitcnt vmcnt(3)
	v_fma_f64 v[94:95], v[78:79], 2.0, v[56:57]
	v_add_f64 v[56:57], v[78:79], v[56:57]
	s_waitcnt vmcnt(1)
	v_mul_f64 v[98:99], v[82:83], v[82:83]
	s_delay_alu instid0(VALU_DEP_4) | instskip(NEXT) | instid1(VALU_DEP_4)
	v_mul_f64 v[89:90], v[58:59], v[89:90]
	v_mul_f64 v[96:97], v[94:95], v[60:61]
	s_waitcnt vmcnt(0)
	s_delay_alu instid0(VALU_DEP_4) | instskip(NEXT) | instid1(VALU_DEP_3)
	v_mul_f64 v[56:57], v[49:50], v[56:57]
	v_fma_f64 v[98:99], v[0:1], v[89:90], v[98:99]
	s_delay_alu instid0(VALU_DEP_3) | instskip(NEXT) | instid1(VALU_DEP_2)
	v_mul_f64 v[96:97], v[4:5], v[96:97]
	v_mul_f64 v[98:99], v[78:79], v[98:99]
	s_delay_alu instid0(VALU_DEP_2) | instskip(NEXT) | instid1(VALU_DEP_1)
	v_mul_f64 v[96:97], v[60:61], v[96:97]
	v_fma_f64 v[96:97], v[4:5], v[96:97], v[98:99]
	v_mul_f64 v[98:99], v[4:5], v[60:61]
	s_delay_alu instid0(VALU_DEP_2) | instskip(NEXT) | instid1(VALU_DEP_2)
	v_fma_f64 v[33:34], v[49:50], v[96:97], v[33:34]
	v_mul_f64 v[98:99], v[60:61], v[98:99]
	s_delay_alu instid0(VALU_DEP_1) | instskip(NEXT) | instid1(VALU_DEP_1)
	v_mul_f64 v[98:99], v[4:5], v[98:99]
	v_fma_f64 v[89:90], v[0:1], v[89:90], v[98:99]
	v_fma_f64 v[98:99], v[82:83], v[82:83], v[98:99]
	s_delay_alu instid0(VALU_DEP_1) | instskip(NEXT) | instid1(VALU_DEP_3)
	v_mul_f64 v[98:99], v[78:79], v[98:99]
	v_mul_f64 v[78:79], v[78:79], v[89:90]
	;; [unrolled: 1-line block ×4, first 2 shown]
	s_delay_alu instid0(VALU_DEP_2) | instskip(NEXT) | instid1(VALU_DEP_2)
	v_mul_f64 v[89:90], v[0:1], v[89:90]
	v_fma_f64 v[78:79], v[82:83], v[94:95], v[78:79]
	s_delay_alu instid0(VALU_DEP_2) | instskip(SKIP_2) | instid1(VALU_DEP_4)
	v_mul_f64 v[89:90], v[58:59], v[89:90]
	v_mul_f64 v[58:59], v[58:59], v[56:57]
	;; [unrolled: 1-line block ×3, first 2 shown]
	v_fma_f64 v[24:25], v[49:50], v[78:79], v[24:25]
	s_delay_alu instid0(VALU_DEP_4) | instskip(NEXT) | instid1(VALU_DEP_4)
	v_fma_f64 v[89:90], v[0:1], v[89:90], v[98:99]
	v_fma_f64 v[26:27], v[60:61], v[58:59], v[26:27]
	;; [unrolled: 1-line block ×4, first 2 shown]
	s_delay_alu instid0(VALU_DEP_4)
	v_fma_f64 v[35:36], v[49:50], v[89:90], v[35:36]
	s_cbranch_scc0 .LBB0_3
; %bb.4:                                ;   in Loop: Header=BB0_2 Depth=1
	s_delay_alu instid0(VALU_DEP_3) | instskip(SKIP_1) | instid1(VALU_DEP_4)
	v_mad_u64_u32 v[42:43], null, s35, s21, v[28:29]
	v_mul_f64 v[33:34], v[62:63], v[33:34]
	v_mul_f64 v[31:32], v[54:55], v[31:32]
	s_delay_alu instid0(VALU_DEP_4)
	v_mul_f64 v[35:36], v[62:63], v[35:36]
	v_mul_f64 v[29:30], v[52:53], v[29:30]
	;; [unrolled: 1-line block ×3, first 2 shown]
	v_add_nc_u32_e32 v41, 6, v41
	v_add_nc_u32_e32 v44, s4, v42
	v_ashrrev_i32_e32 v43, 31, v42
	s_add_i32 s35, s35, 1
	s_delay_alu instid0(SALU_CYCLE_1) | instskip(NEXT) | instid1(VALU_DEP_2)
	s_cmp_eq_u32 s35, 9
	v_ashrrev_i32_e32 v45, 31, v44
	v_add_nc_u32_e32 v49, s4, v44
	v_lshlrev_b64 v[42:43], 3, v[42:43]
	s_delay_alu instid0(VALU_DEP_3) | instskip(NEXT) | instid1(VALU_DEP_3)
	v_lshlrev_b64 v[45:46], 3, v[44:45]
	v_ashrrev_i32_e32 v50, 31, v49
	s_delay_alu instid0(VALU_DEP_1) | instskip(NEXT) | instid1(VALU_DEP_3)
	v_lshlrev_b64 v[49:50], 3, v[49:50]
	v_add_co_u32 v45, vcc_lo, s12, v45
	s_delay_alu instid0(VALU_DEP_4)
	v_add_co_ci_u32_e32 v46, vcc_lo, s13, v46, vcc_lo
	v_add_co_u32 v42, vcc_lo, s12, v42
	v_add_co_ci_u32_e32 v43, vcc_lo, s13, v43, vcc_lo
	global_load_b64 v[45:46], v[45:46], off
	v_add_co_u32 v49, vcc_lo, s12, v49
	v_add_co_ci_u32_e32 v50, vcc_lo, s13, v50, vcc_lo
	s_clause 0x1
	global_load_b64 v[49:50], v[49:50], off
	global_load_b64 v[42:43], v[42:43], off
	s_waitcnt vmcnt(2)
	v_mul_f64 v[56:57], v[26:27], v[45:46]
	v_mul_f64 v[33:34], v[33:34], v[45:46]
	;; [unrolled: 1-line block ×3, first 2 shown]
	s_waitcnt vmcnt(0)
	s_delay_alu instid0(VALU_DEP_3) | instskip(NEXT) | instid1(VALU_DEP_3)
	v_fma_f64 v[35:36], v[35:36], v[42:43], v[56:57]
	v_fma_f64 v[26:27], v[26:27], v[42:43], v[33:34]
	s_delay_alu instid0(VALU_DEP_3) | instskip(NEXT) | instid1(VALU_DEP_3)
	v_fma_f64 v[33:34], v[29:30], v[42:43], v[44:45]
	v_fma_f64 v[29:30], v[29:30], v[49:50], v[35:36]
	;; [unrolled: 3-line block ×3, first 2 shown]
	s_delay_alu instid0(VALU_DEP_3) | instskip(NEXT) | instid1(VALU_DEP_3)
	v_add_f64 v[64:65], v[64:65], v[29:30]
	v_add_f64 v[134:135], v[134:135], v[26:27]
	s_delay_alu instid0(VALU_DEP_3)
	v_add_f64 v[160:161], v[160:161], v[24:25]
	s_cbranch_scc0 .LBB0_2
; %bb.5:
	v_add_nc_u32_e32 v24, s21, v28
	v_ashrrev_i32_e32 v49, 31, v48
	v_dual_mov_b32 v162, 0 :: v_dual_add_nc_u32 v57, s38, v47
	v_mov_b32_e32 v163, 0
	s_delay_alu instid0(VALU_DEP_4) | instskip(NEXT) | instid1(VALU_DEP_4)
	v_ashrrev_i32_e32 v25, 31, v24
	v_lshlrev_b64 v[26:27], 3, v[48:49]
	v_add3_u32 v28, s36, s21, v108
	v_add_nc_u32_e32 v87, s38, v72
	v_add_nc_u32_e32 v56, s38, v71
	v_lshlrev_b64 v[30:31], 3, v[24:25]
	v_add_nc_u32_e32 v101, v68, v57
	v_add_co_u32 v24, vcc_lo, s24, v26
	v_ashrrev_i32_e32 v29, 31, v28
	v_add_co_ci_u32_e32 v25, vcc_lo, s25, v27, vcc_lo
	v_add_co_u32 v26, vcc_lo, s14, v30
	v_add_co_ci_u32_e32 v27, vcc_lo, s15, v31, vcc_lo
	v_add_nc_u32_e32 v32, s4, v28
	v_lshlrev_b64 v[34:35], 3, v[28:29]
	v_add_co_u32 v28, vcc_lo, s16, v30
	v_add_co_ci_u32_e32 v29, vcc_lo, s17, v31, vcc_lo
	global_load_b64 v[8:9], v[24:25], off offset:-8
	v_add_nc_u32_e32 v36, s4, v32
	v_add_co_u32 v30, vcc_lo, s18, v34
	global_load_b64 v[24:25], v[28:29], off
	v_ashrrev_i32_e32 v33, 31, v32
	v_ashrrev_i32_e32 v37, 31, v36
	v_add_co_ci_u32_e32 v31, vcc_lo, s19, v35, vcc_lo
	v_mov_b32_e32 v165, v163
	s_delay_alu instid0(VALU_DEP_4) | instskip(NEXT) | instid1(VALU_DEP_4)
	v_lshlrev_b64 v[32:33], 3, v[32:33]
	v_lshlrev_b64 v[34:35], 3, v[36:37]
	v_add_nc_u32_e32 v36, s4, v108
	v_add_nc_u32_e32 v94, v68, v87
	;; [unrolled: 1-line block ×4, first 2 shown]
	v_add_co_u32 v32, vcc_lo, s18, v32
	v_ashrrev_i32_e32 v37, 31, v36
	v_add_nc_u32_e32 v38, s4, v36
	v_add_co_ci_u32_e32 v33, vcc_lo, s19, v33, vcc_lo
	v_add_co_u32 v34, vcc_lo, s18, v34
	s_delay_alu instid0(VALU_DEP_4)
	v_lshlrev_b64 v[36:37], 3, v[36:37]
	v_add_co_ci_u32_e32 v35, vcc_lo, s19, v35, vcc_lo
	v_ashrrev_i32_e32 v39, 31, v38
	v_add_nc_u32_e32 v40, s4, v38
	v_add_nc_u32_e32 v42, s36, v94
	v_add_co_u32 v36, vcc_lo, s12, v36
	v_add_co_ci_u32_e32 v37, vcc_lo, s13, v37, vcc_lo
	v_lshlrev_b64 v[38:39], 3, v[38:39]
	v_ashrrev_i32_e32 v41, 31, v40
	v_dual_mov_b32 v167, v163 :: v_dual_add_nc_u32 v44, s36, v101
	v_add_nc_u32_e32 v103, v68, v51
	v_ashrrev_i32_e32 v43, 31, v42
	v_add_co_u32 v38, vcc_lo, s12, v38
	v_add_co_ci_u32_e32 v39, vcc_lo, s13, v39, vcc_lo
	v_lshlrev_b64 v[40:41], 3, v[40:41]
	v_add_nc_u32_e32 v46, s36, v102
	v_add_nc_u32_e32 v104, v70, v87
	v_ashrrev_i32_e32 v45, 31, v44
	v_dual_mov_b32 v164, v162 :: v_dual_add_nc_u32 v49, s36, v103
	v_add_co_u32 v40, vcc_lo, s12, v40
	v_add_co_ci_u32_e32 v41, vcc_lo, s13, v41, vcc_lo
	v_lshlrev_b64 v[42:43], 3, v[42:43]
	v_add_nc_u32_e32 v112, v70, v57
	v_ashrrev_i32_e32 v47, 31, v46
	v_add_nc_u32_e32 v58, s36, v104
	v_lshlrev_b64 v[44:45], 3, v[44:45]
	v_add_nc_u32_e32 v113, v70, v56
	v_ashrrev_i32_e32 v50, 31, v49
	v_add_nc_u32_e32 v60, s36, v112
	v_add_co_u32 v42, vcc_lo, s12, v42
	v_lshlrev_b64 v[46:47], 3, v[46:47]
	v_add_nc_u32_e32 v122, v70, v51
	v_ashrrev_i32_e32 v59, 31, v58
	v_add_co_ci_u32_e32 v43, vcc_lo, s13, v43, vcc_lo
	v_add_nc_u32_e32 v68, s36, v113
	v_add_co_u32 v44, vcc_lo, s12, v44
	v_lshlrev_b64 v[49:50], 3, v[49:50]
	v_add_nc_u32_e32 v124, v84, v87
	v_ashrrev_i32_e32 v61, 31, v60
	v_add_co_ci_u32_e32 v45, vcc_lo, s13, v45, vcc_lo
	v_add_nc_u32_e32 v70, s36, v122
	v_add_co_u32 v46, vcc_lo, s12, v46
	v_lshlrev_b64 v[58:59], 3, v[58:59]
	v_add_nc_u32_e32 v126, v84, v57
	v_ashrrev_i32_e32 v69, 31, v68
	v_add_co_ci_u32_e32 v47, vcc_lo, s13, v47, vcc_lo
	v_add_nc_u32_e32 v72, s36, v124
	v_add_co_u32 v49, vcc_lo, s12, v49
	v_lshlrev_b64 v[60:61], 3, v[60:61]
	v_add_nc_u32_e32 v128, v84, v56
	v_ashrrev_i32_e32 v71, 31, v70
	v_add_co_ci_u32_e32 v50, vcc_lo, s13, v50, vcc_lo
	v_add_nc_u32_e32 v78, s36, v126
	v_add_co_u32 v58, vcc_lo, s12, v58
	v_lshlrev_b64 v[68:69], 3, v[68:69]
	v_add_nc_u32_e32 v130, v84, v51
	v_ashrrev_i32_e32 v73, 31, v72
	v_add_co_ci_u32_e32 v59, vcc_lo, s13, v59, vcc_lo
	v_add_nc_u32_e32 v82, s36, v128
	v_add_co_u32 v60, vcc_lo, s12, v60
	v_lshlrev_b64 v[70:71], 3, v[70:71]
	v_add_nc_u32_e32 v87, v93, v87
	v_ashrrev_i32_e32 v79, 31, v78
	v_add_co_ci_u32_e32 v61, vcc_lo, s13, v61, vcc_lo
	v_add_nc_u32_e32 v84, s36, v130
	v_add_co_u32 v68, vcc_lo, s12, v68
	v_lshlrev_b64 v[72:73], 3, v[72:73]
	v_add_nc_u32_e32 v136, v93, v57
	v_ashrrev_i32_e32 v83, 31, v82
	v_add_co_ci_u32_e32 v69, vcc_lo, s13, v69, vcc_lo
	v_add_nc_u32_e32 v89, s36, v87
	v_add_co_u32 v70, vcc_lo, s12, v70
	v_lshlrev_b64 v[78:79], 3, v[78:79]
	v_add_nc_u32_e32 v138, v93, v56
	v_ashrrev_i32_e32 v85, 31, v84
	v_add_co_ci_u32_e32 v71, vcc_lo, s13, v71, vcc_lo
	v_add_nc_u32_e32 v95, s36, v136
	v_add_co_u32 v72, vcc_lo, s12, v72
	v_lshlrev_b64 v[82:83], 3, v[82:83]
	v_ashrrev_i32_e32 v90, 31, v89
	v_add_co_ci_u32_e32 v73, vcc_lo, s13, v73, vcc_lo
	v_add_nc_u32_e32 v56, s36, v138
	v_add_co_u32 v78, vcc_lo, s12, v78
	v_lshlrev_b64 v[84:85], 3, v[84:85]
	v_ashrrev_i32_e32 v96, 31, v95
	v_add_co_ci_u32_e32 v79, vcc_lo, s13, v79, vcc_lo
	v_add_co_u32 v82, vcc_lo, s12, v82
	v_lshlrev_b64 v[89:90], 3, v[89:90]
	v_ashrrev_i32_e32 v57, 31, v56
	v_add_co_ci_u32_e32 v83, vcc_lo, s13, v83, vcc_lo
	v_add_co_u32 v84, vcc_lo, s12, v84
	v_lshlrev_b64 v[95:96], 3, v[95:96]
	v_add_co_ci_u32_e32 v85, vcc_lo, s13, v85, vcc_lo
	v_add_co_u32 v89, vcc_lo, s12, v89
	v_lshlrev_b64 v[56:57], 3, v[56:57]
	v_dual_mov_b32 v166, v162 :: v_dual_add_nc_u32 v51, v93, v51
	v_add_co_ci_u32_e32 v90, vcc_lo, s13, v90, vcc_lo
	v_add_co_u32 v95, vcc_lo, s12, v95
	v_add_co_ci_u32_e32 v96, vcc_lo, s13, v96, vcc_lo
	v_add_co_u32 v97, vcc_lo, s12, v56
	v_add_nc_u32_e32 v56, s36, v51
	v_add_co_ci_u32_e32 v98, vcc_lo, s13, v57, vcc_lo
	s_mov_b32 s2, -1
	s_mov_b32 s8, s21
	s_delay_alu instid0(VALU_DEP_2) | instskip(SKIP_2) | instid1(VALU_DEP_1)
	v_ashrrev_i32_e32 v57, 31, v56
	global_load_b64 v[10:11], v[34:35], off
	v_lshlrev_b64 v[56:57], 3, v[56:57]
	v_add_co_u32 v99, vcc_lo, s12, v56
	v_add_nc_u32_e32 v56, s4, v94
	s_delay_alu instid0(VALU_DEP_3) | instskip(NEXT) | instid1(VALU_DEP_2)
	v_add_co_ci_u32_e32 v100, vcc_lo, s13, v57, vcc_lo
	v_ashrrev_i32_e32 v57, 31, v56
	s_delay_alu instid0(VALU_DEP_1) | instskip(NEXT) | instid1(VALU_DEP_1)
	v_lshlrev_b64 v[56:57], 3, v[56:57]
	v_add_co_u32 v93, vcc_lo, s12, v56
	v_add_nc_u32_e32 v56, s4, v101
	s_delay_alu instid0(VALU_DEP_3) | instskip(NEXT) | instid1(VALU_DEP_2)
	v_add_co_ci_u32_e32 v94, vcc_lo, s13, v57, vcc_lo
	v_ashrrev_i32_e32 v57, 31, v56
	s_delay_alu instid0(VALU_DEP_1) | instskip(NEXT) | instid1(VALU_DEP_1)
	;; [unrolled: 7-line block ×7, first 2 shown]
	v_lshlrev_b64 v[56:57], 3, v[56:57]
	v_add_co_u32 v120, vcc_lo, s12, v56
	v_add_nc_u32_e32 v56, s4, v122
	s_delay_alu instid0(VALU_DEP_3) | instskip(NEXT) | instid1(VALU_DEP_2)
	v_add_co_ci_u32_e32 v121, vcc_lo, s13, v57, vcc_lo
	v_ashrrev_i32_e32 v57, 31, v56
	s_delay_alu instid0(VALU_DEP_1)
	v_lshlrev_b64 v[56:57], 3, v[56:57]
	s_waitcnt vmcnt(2)
	scratch_store_b64 off, v[8:9], off offset:416 ; 8-byte Folded Spill
	global_load_b64 v[8:9], v[26:27], off
	v_add_co_u32 v122, vcc_lo, s12, v56
	s_waitcnt vmcnt(2)
	scratch_store_b64 off, v[24:25], off offset:352 ; 8-byte Folded Spill
	global_load_b64 v[24:25], v[36:37], off
	v_add_nc_u32_e32 v56, s4, v124
	v_add_co_ci_u32_e32 v123, vcc_lo, s13, v57, vcc_lo
	s_delay_alu instid0(VALU_DEP_2) | instskip(NEXT) | instid1(VALU_DEP_1)
	v_ashrrev_i32_e32 v57, 31, v56
	v_lshlrev_b64 v[56:57], 3, v[56:57]
	s_delay_alu instid0(VALU_DEP_1) | instskip(SKIP_1) | instid1(VALU_DEP_3)
	v_add_co_u32 v124, vcc_lo, s12, v56
	v_add_nc_u32_e32 v56, s4, v126
	v_add_co_ci_u32_e32 v125, vcc_lo, s13, v57, vcc_lo
	s_delay_alu instid0(VALU_DEP_2) | instskip(NEXT) | instid1(VALU_DEP_1)
	v_ashrrev_i32_e32 v57, 31, v56
	v_lshlrev_b64 v[56:57], 3, v[56:57]
	s_delay_alu instid0(VALU_DEP_1) | instskip(SKIP_1) | instid1(VALU_DEP_3)
	v_add_co_u32 v126, vcc_lo, s12, v56
	v_add_nc_u32_e32 v56, s4, v128
	v_add_co_ci_u32_e32 v127, vcc_lo, s13, v57, vcc_lo
	s_delay_alu instid0(VALU_DEP_2) | instskip(NEXT) | instid1(VALU_DEP_1)
	v_ashrrev_i32_e32 v57, 31, v56
	v_lshlrev_b64 v[56:57], 3, v[56:57]
	s_delay_alu instid0(VALU_DEP_1) | instskip(SKIP_1) | instid1(VALU_DEP_3)
	v_add_co_u32 v128, vcc_lo, s12, v56
	v_add_nc_u32_e32 v56, s4, v130
	v_add_co_ci_u32_e32 v129, vcc_lo, s13, v57, vcc_lo
	s_delay_alu instid0(VALU_DEP_2) | instskip(NEXT) | instid1(VALU_DEP_1)
	v_ashrrev_i32_e32 v57, 31, v56
	v_lshlrev_b64 v[56:57], 3, v[56:57]
	s_delay_alu instid0(VALU_DEP_1) | instskip(SKIP_1) | instid1(VALU_DEP_3)
	v_add_co_u32 v130, vcc_lo, s12, v56
	v_add_nc_u32_e32 v56, s4, v87
	v_add_co_ci_u32_e32 v131, vcc_lo, s13, v57, vcc_lo
	s_delay_alu instid0(VALU_DEP_2) | instskip(NEXT) | instid1(VALU_DEP_1)
	v_ashrrev_i32_e32 v57, 31, v56
	v_lshlrev_b64 v[56:57], 3, v[56:57]
	s_delay_alu instid0(VALU_DEP_1) | instskip(SKIP_1) | instid1(VALU_DEP_3)
	v_add_co_u32 v132, vcc_lo, s12, v56
	v_add_nc_u32_e32 v56, s4, v136
	v_add_co_ci_u32_e32 v133, vcc_lo, s13, v57, vcc_lo
	s_delay_alu instid0(VALU_DEP_2) | instskip(NEXT) | instid1(VALU_DEP_1)
	v_ashrrev_i32_e32 v57, 31, v56
	v_lshlrev_b64 v[56:57], 3, v[56:57]
	s_delay_alu instid0(VALU_DEP_1) | instskip(SKIP_1) | instid1(VALU_DEP_3)
	v_add_co_u32 v136, vcc_lo, s12, v56
	v_add_nc_u32_e32 v56, s4, v138
	v_add_co_ci_u32_e32 v137, vcc_lo, s13, v57, vcc_lo
	s_delay_alu instid0(VALU_DEP_2) | instskip(NEXT) | instid1(VALU_DEP_1)
	v_ashrrev_i32_e32 v57, 31, v56
	v_lshlrev_b64 v[56:57], 3, v[56:57]
	s_delay_alu instid0(VALU_DEP_1) | instskip(SKIP_1) | instid1(VALU_DEP_3)
	v_add_co_u32 v138, vcc_lo, s12, v56
	v_add_nc_u32_e32 v56, s4, v51
	v_add_co_ci_u32_e32 v139, vcc_lo, s13, v57, vcc_lo
	s_delay_alu instid0(VALU_DEP_2) | instskip(NEXT) | instid1(VALU_DEP_1)
	v_ashrrev_i32_e32 v57, 31, v56
	v_lshlrev_b64 v[56:57], 3, v[56:57]
	s_delay_alu instid0(VALU_DEP_1) | instskip(NEXT) | instid1(VALU_DEP_2)
	v_add_co_u32 v140, vcc_lo, s12, v56
	v_add_co_ci_u32_e32 v141, vcc_lo, s13, v57, vcc_lo
	s_waitcnt vmcnt(1)
	scratch_store_b64 off, v[8:9], off offset:480 ; 8-byte Folded Spill
	global_load_b64 v[8:9], v[30:31], off
	s_waitcnt vmcnt(1)
	scratch_store_b64 off, v[24:25], off offset:368 ; 8-byte Folded Spill
	global_load_b64 v[24:25], v[38:39], off
	scratch_store_b64 off, v[10:11], off offset:496 ; 8-byte Folded Spill
	s_waitcnt vmcnt(0)
	scratch_store_b64 off, v[24:25], off offset:376 ; 8-byte Folded Spill
	global_load_b64 v[24:25], v[40:41], off
	scratch_store_b64 off, v[8:9], off offset:424 ; 8-byte Folded Spill
	global_load_b64 v[8:9], v[32:33], off
	s_waitcnt vmcnt(1)
	scratch_store_b64 off, v[24:25], off offset:360 ; 8-byte Folded Spill
	s_waitcnt vmcnt(0)
	scratch_store_b64 off, v[8:9], off offset:504 ; 8-byte Folded Spill
	s_clause 0x9
	global_load_b64 v[147:148], v[42:43], off
	global_load_b64 v[56:57], v[44:45], off
	global_load_b64 v[155:156], v[46:47], off
	global_load_b64 v[157:158], v[49:50], off
	global_load_b64 v[76:77], v[58:59], off
	global_load_b64 v[112:113], v[60:61], off
	global_load_b64 v[168:169], v[68:69], off
	global_load_b64 v[20:21], v[70:71], off
	global_load_b64 v[24:25], v[72:73], off
	global_load_b64 v[10:11], v[78:79], off
	v_mov_b32_e32 v78, v162
	v_mov_b32_e32 v68, v162
	v_mov_b32_e32 v72, v162
	v_dual_mov_b32 v70, v162 :: v_dual_mov_b32 v79, v163
	v_mov_b32_e32 v69, v163
	v_mov_b32_e32 v73, v163
	;; [unrolled: 1-line block ×3, first 2 shown]
	s_waitcnt vmcnt(1)
	scratch_store_b64 off, v[24:25], off offset:472 ; 8-byte Folded Spill
	s_waitcnt vmcnt(0)
	scratch_store_b64 off, v[10:11], off offset:488 ; 8-byte Folded Spill
	s_clause 0xe
	global_load_b64 v[174:175], v[82:83], off
	global_load_b64 v[74:75], v[84:85], off
	;; [unrolled: 1-line block ×15, first 2 shown]
	v_mov_b32_e32 v114, v162
	v_mov_b32_e32 v124, v162
	v_dual_mov_b32 v120, v162 :: v_dual_mov_b32 v115, v163
	v_mov_b32_e32 v125, v163
	v_mov_b32_e32 v121, v163
	s_waitcnt vmcnt(0)
	scratch_store_b64 off, v[24:25], off offset:520 ; 8-byte Folded Spill
	global_load_b64 v[24:25], v[126:127], off
	v_dual_mov_b32 v126, v162 :: v_dual_mov_b32 v127, v163
	s_waitcnt vmcnt(0)
	scratch_store_b64 off, v[24:25], off offset:536 ; 8-byte Folded Spill
	global_load_b64 v[24:25], v[128:129], off
	v_dual_mov_b32 v128, v162 :: v_dual_mov_b32 v129, v163
	s_waitcnt vmcnt(0)
	scratch_store_b64 off, v[24:25], off offset:464 ; 8-byte Folded Spill
	global_load_b64 v[24:25], v[130:131], off
	s_waitcnt vmcnt(0)
	scratch_store_b64 off, v[24:25], off offset:440 ; 8-byte Folded Spill
	s_clause 0x1
	global_load_b64 v[132:133], v[132:133], off
	global_load_b64 v[24:25], v[136:137], off
	s_waitcnt vmcnt(0)
	scratch_store_b64 off, v[24:25], off offset:552 ; 8-byte Folded Spill
	global_load_b64 v[24:25], v[138:139], off
	s_waitcnt vmcnt(0)
	scratch_store_b64 off, v[24:25], off offset:448 ; 8-byte Folded Spill
	;; [unrolled: 3-line block ×3, first 2 shown]
	v_ashrrev_i32_e32 v24, 31, v108
.LBB0_6:                                ; =>This Inner Loop Header: Depth=1
	v_add_nc_u32_e32 v25, s2, v48
	s_ashr_i32 s9, s8, 31
	v_add_co_u32 v35, vcc_lo, s8, v108
	s_delay_alu instid0(VALU_DEP_3) | instskip(NEXT) | instid1(VALU_DEP_3)
	v_add_co_ci_u32_e32 v36, vcc_lo, s9, v24, vcc_lo
	v_ashrrev_i32_e32 v26, 31, v25
	s_delay_alu instid0(VALU_DEP_3) | instskip(NEXT) | instid1(VALU_DEP_3)
	v_add_co_u32 v27, vcc_lo, v35, s4
	v_add_co_ci_u32_e32 v28, vcc_lo, s5, v36, vcc_lo
	s_delay_alu instid0(VALU_DEP_3) | instskip(SKIP_2) | instid1(VALU_DEP_2)
	v_lshlrev_b64 v[25:26], 3, v[25:26]
	s_add_i32 s2, s2, 6
	s_add_i32 s8, s8, s21
	v_lshlrev_b64 v[27:28], 3, v[27:28]
	s_cmp_eq_u32 s2, 47
	s_delay_alu instid0(VALU_DEP_2) | instskip(SKIP_1) | instid1(VALU_DEP_3)
	v_add_co_u32 v25, vcc_lo, s10, v25
	v_add_co_ci_u32_e32 v26, vcc_lo, s11, v26, vcc_lo
	v_add_co_u32 v29, vcc_lo, s12, v27
	s_delay_alu instid0(VALU_DEP_4)
	v_add_co_ci_u32_e32 v30, vcc_lo, s13, v28, vcc_lo
	global_load_b64 v[31:32], v[25:26], off
	global_load_b128 v[25:28], v[29:30], off offset:-16
	s_waitcnt vmcnt(0)
	v_fma_f64 v[70:71], v[31:32], v[25:26], v[70:71]
	v_add_co_u32 v25, vcc_lo, v35, s36
	v_add_co_ci_u32_e32 v26, vcc_lo, s37, v36, vcc_lo
	v_fma_f64 v[120:121], v[31:32], v[27:28], v[120:121]
	s_delay_alu instid0(VALU_DEP_2) | instskip(NEXT) | instid1(VALU_DEP_1)
	v_lshlrev_b64 v[25:26], 3, v[25:26]
	v_add_co_u32 v33, vcc_lo, s12, v25
	s_delay_alu instid0(VALU_DEP_2)
	v_add_co_ci_u32_e32 v34, vcc_lo, s13, v26, vcc_lo
	global_load_b128 v[25:28], v[33:34], off offset:-16
	s_waitcnt vmcnt(0)
	v_fma_f64 v[68:69], v[31:32], v[25:26], v[68:69]
	v_add_co_u32 v25, vcc_lo, v35, s41
	v_add_co_ci_u32_e32 v26, vcc_lo, s42, v36, vcc_lo
	v_fma_f64 v[126:127], v[31:32], v[27:28], v[126:127]
	s_delay_alu instid0(VALU_DEP_2) | instskip(NEXT) | instid1(VALU_DEP_1)
	v_lshlrev_b64 v[25:26], 3, v[25:26]
	v_add_co_u32 v35, vcc_lo, s12, v25
	s_delay_alu instid0(VALU_DEP_2)
	v_add_co_ci_u32_e32 v36, vcc_lo, s13, v26, vcc_lo
	global_load_b128 v[25:28], v[35:36], off offset:-16
	s_waitcnt vmcnt(0)
	v_fma_f64 v[124:125], v[31:32], v[25:26], v[124:125]
	v_fma_f64 v[114:115], v[31:32], v[27:28], v[114:115]
	global_load_b128 v[25:28], v[29:30], off offset:8
	s_waitcnt vmcnt(0)
	v_fma_f64 v[72:73], v[31:32], v[27:28], v[72:73]
	v_fma_f64 v[166:167], v[31:32], v[25:26], v[166:167]
	global_load_b128 v[25:28], v[33:34], off offset:8
	;; [unrolled: 4-line block ×3, first 2 shown]
	s_waitcnt vmcnt(0)
	v_fma_f64 v[162:163], v[31:32], v[27:28], v[162:163]
	v_fma_f64 v[128:129], v[31:32], v[25:26], v[128:129]
	s_cbranch_scc0 .LBB0_6
; %bb.7:
	s_lshl_b32 s2, s4, 2
	s_clause 0x1
	scratch_store_b64 off, v[54:55], off offset:528
	scratch_store_b64 off, v[52:53], off offset:512
	s_ashr_i32 s4, s2, 31
	v_add_co_u32 v24, vcc_lo, v107, s2
	v_add_co_ci_u32_e32 v25, vcc_lo, s4, v109, vcc_lo
	v_add_co_u32 v28, vcc_lo, s18, v18
	v_add_co_ci_u32_e32 v29, vcc_lo, s19, v19, vcc_lo
	s_delay_alu instid0(VALU_DEP_3)
	v_lshlrev_b64 v[24:25], 3, v[24:25]
	v_add_co_u32 v30, vcc_lo, s18, v184
	v_add_co_ci_u32_e32 v31, vcc_lo, s19, v185, vcc_lo
	s_clause 0x1
	scratch_store_b64 off, v[18:19], off offset:80
	scratch_store_b64 off, v[184:185], off offset:176
	v_add_co_u32 v40, vcc_lo, s18, v24
	v_add_co_ci_u32_e32 v41, vcc_lo, s19, v25, vcc_lo
	s_clause 0x5
	global_load_b128 v[24:27], v[28:29], off offset:8
	global_load_b128 v[36:39], v[28:29], off offset:-16
	global_load_b128 v[32:35], v[30:31], off offset:8
	global_load_b128 v[44:47], v[30:31], off offset:-16
	;; [unrolled: 2-line block ×3, first 2 shown]
	v_xad_u32 v58, s3, -1, v142
	s_not_b32 s4, s28
	s_delay_alu instid0(SALU_CYCLE_1) | instskip(SKIP_1) | instid1(VALU_DEP_2)
	v_dual_mov_b32 v116, 0 :: v_dual_add_nc_u32 v51, s4, v86
	s_mul_i32 s3, s27, 3
	v_subrev_nc_u32_e32 v58, s28, v58
	s_lshl_b32 s5, s27, 2
	s_add_i32 s23, s23, s20
	v_mul_lo_u32 v59, v51, s34
	v_mov_b32_e32 v117, 0
	v_mul_lo_u32 v58, v58, s34
	v_mov_b32_e32 v107, v116
	s_delay_alu instid0(VALU_DEP_3)
	v_dual_mov_b32 v109, v116 :: v_dual_mov_b32 v110, v117
	v_mov_b32_e32 v191, v117
	v_add_nc_u32_e32 v61, v92, v59
	v_mov_b32_e32 v185, v117
	v_add_nc_u32_e32 v87, v92, v58
	v_mov_b32_e32 v189, v117
	v_dual_mov_b32 v187, v117 :: v_dual_mov_b32 v186, v116
	v_add_nc_u32_e32 v90, s5, v61
	s_delay_alu instid0(VALU_DEP_4)
	v_subrev_nc_u32_e32 v96, s26, v87
	v_add_nc_u32_e32 v51, s4, v88
	s_lshl_b32 s4, s26, 2
	v_add_nc_u32_e32 v89, s3, v87
	v_subrev_nc_u32_e32 v98, s26, v61
	v_mov_b32_e32 v123, v117
	v_mul_lo_u32 v60, v51, s34
	v_dual_mov_b32 v122, v116 :: v_dual_add_nc_u32 v51, s3, v61
	v_dual_mov_b32 v119, v117 :: v_dual_mov_b32 v118, v116
	v_mov_b32_e32 v188, v116
	s_delay_alu instid0(VALU_DEP_3)
	v_subrev_nc_u32_e32 v51, s4, v51
	v_mov_b32_e32 v108, v117
	v_add_nc_u32_e32 v86, v92, v60
	v_mov_b32_e32 v184, v116
	v_mov_b32_e32 v190, v116
	v_add_nc_u32_e32 v142, 3, v51
	s_delay_alu instid0(VALU_DEP_4) | instskip(SKIP_2) | instid1(VALU_DEP_1)
	v_subrev_nc_u32_e32 v97, s26, v86
	v_add_nc_u32_e32 v88, s3, v86
	s_mul_i32 s3, s26, 5
	v_subrev_nc_u32_e32 v51, s4, v88
	v_subrev_nc_u32_e32 v88, s4, v89
	;; [unrolled: 1-line block ×3, first 2 shown]
	v_add3_u32 v90, s23, s27, v91
	s_lshl_b32 s4, s26, 1
	s_delay_alu instid0(VALU_DEP_2) | instskip(NEXT) | instid1(VALU_DEP_2)
	v_add_nc_u32_e32 v111, 4, v89
	v_add_nc_u32_e32 v59, v90, v59
	;; [unrolled: 1-line block ×4, first 2 shown]
	s_delay_alu instid0(VALU_DEP_4) | instskip(NEXT) | instid1(VALU_DEP_4)
	v_dual_mov_b32 v137, v111 :: v_dual_add_nc_u32 v92, 3, v88
	v_subrev_nc_u32_e32 v59, s4, v59
	v_add_nc_u32_e32 v51, 3, v51
	s_delay_alu instid0(VALU_DEP_4) | instskip(NEXT) | instid1(VALU_DEP_4)
	v_subrev_nc_u32_e32 v60, s4, v60
	v_mov_b32_e32 v138, v92
	v_subrev_nc_u32_e32 v58, s4, v58
	s_delay_alu instid0(VALU_DEP_4) | instskip(NEXT) | instid1(VALU_DEP_4)
	v_dual_mov_b32 v139, v51 :: v_dual_add_nc_u32 v94, 1, v59
	v_dual_mov_b32 v60, v116 :: v_dual_add_nc_u32 v95, 1, v60
	s_delay_alu instid0(VALU_DEP_2) | instskip(SKIP_4) | instid1(VALU_DEP_4)
	v_dual_mov_b32 v130, v94 :: v_dual_add_nc_u32 v99, 1, v58
	v_add_nc_u32_e32 v88, s5, v87
	v_dual_mov_b32 v58, v116 :: v_dual_mov_b32 v61, v117
	v_mov_b32_e32 v90, v98
	v_mov_b32_e32 v100, v95
	v_subrev_nc_u32_e32 v88, s3, v88
	v_mov_b32_e32 v59, v117
	s_delay_alu instid0(VALU_DEP_2) | instskip(NEXT) | instid1(VALU_DEP_1)
	v_dual_mov_b32 v88, v96 :: v_dual_add_nc_u32 v93, 4, v88
	v_mov_b32_e32 v131, v93
	v_dual_mov_b32 v140, v142 :: v_dual_add_nc_u32 v91, s5, v86
	v_dual_mov_b32 v86, v116 :: v_dual_mov_b32 v87, v117
	s_delay_alu instid0(VALU_DEP_2) | instskip(SKIP_2) | instid1(VALU_DEP_2)
	v_subrev_nc_u32_e32 v89, s3, v91
	v_mov_b32_e32 v91, v99
	s_mov_b32 s3, -1
	v_add_nc_u32_e32 v159, 4, v89
	s_delay_alu instid0(VALU_DEP_1)
	v_dual_mov_b32 v89, v97 :: v_dual_mov_b32 v136, v159
.LBB0_8:                                ; =>This Inner Loop Header: Depth=1
	v_add_nc_u32_e32 v101, s3, v48
	v_add_nc_u32_e32 v103, s33, v88
	v_add_nc_u32_e32 v88, s21, v88
	s_add_i32 s3, s3, 6
	s_delay_alu instid0(SALU_CYCLE_1) | instskip(SKIP_2) | instid1(VALU_DEP_2)
	s_cmp_eq_u32 s3, 47
	v_ashrrev_i32_e32 v102, 31, v101
	v_ashrrev_i32_e32 v104, 31, v103
	v_lshlrev_b64 v[101:102], 3, v[101:102]
	s_delay_alu instid0(VALU_DEP_2) | instskip(NEXT) | instid1(VALU_DEP_2)
	v_lshlrev_b64 v[103:104], 3, v[103:104]
	v_add_co_u32 v101, vcc_lo, s10, v101
	s_delay_alu instid0(VALU_DEP_3) | instskip(NEXT) | instid1(VALU_DEP_3)
	v_add_co_ci_u32_e32 v102, vcc_lo, s11, v102, vcc_lo
	v_add_co_u32 v103, vcc_lo, s12, v103
	s_delay_alu instid0(VALU_DEP_4)
	v_add_co_ci_u32_e32 v104, vcc_lo, s13, v104, vcc_lo
	global_load_b64 v[101:102], v[101:102], off
	global_load_b64 v[103:104], v[103:104], off
	s_waitcnt vmcnt(0)
	v_fma_f64 v[86:87], v[101:102], v[103:104], v[86:87]
	v_add_nc_u32_e32 v103, s33, v90
	v_add_nc_u32_e32 v90, s21, v90
	s_delay_alu instid0(VALU_DEP_2) | instskip(NEXT) | instid1(VALU_DEP_1)
	v_ashrrev_i32_e32 v104, 31, v103
	v_lshlrev_b64 v[103:104], 3, v[103:104]
	s_delay_alu instid0(VALU_DEP_1) | instskip(NEXT) | instid1(VALU_DEP_2)
	v_add_co_u32 v103, vcc_lo, s12, v103
	v_add_co_ci_u32_e32 v104, vcc_lo, s13, v104, vcc_lo
	global_load_b64 v[103:104], v[103:104], off
	s_waitcnt vmcnt(0)
	v_fma_f64 v[188:189], v[101:102], v[103:104], v[188:189]
	v_add_nc_u32_e32 v103, s33, v89
	v_add_nc_u32_e32 v89, s21, v89
	s_delay_alu instid0(VALU_DEP_2) | instskip(NEXT) | instid1(VALU_DEP_1)
	v_ashrrev_i32_e32 v104, 31, v103
	v_lshlrev_b64 v[103:104], 3, v[103:104]
	s_delay_alu instid0(VALU_DEP_1) | instskip(NEXT) | instid1(VALU_DEP_2)
	v_add_co_u32 v103, vcc_lo, s12, v103
	v_add_co_ci_u32_e32 v104, vcc_lo, s13, v104, vcc_lo
	;; [unrolled: 11-line block ×11, first 2 shown]
	global_load_b64 v[103:104], v[103:104], off
	s_waitcnt vmcnt(0)
	v_fma_f64 v[118:119], v[101:102], v[103:104], v[118:119]
	s_cbranch_scc0 .LBB0_8
; %bb.9:
	scratch_load_b64 v[49:50], off, off offset:456 ; 8-byte Folded Reload
	v_mul_f64 v[90:91], v[149:150], v[32:33]
	v_mul_f64 v[130:131], v[149:150], v[28:29]
	scratch_load_b64 v[102:103], off, off offset:184 ; 8-byte Folded Reload
	s_mov_b32 s4, 0x55555555
	s_mov_b32 s5, 0x3fb55555
	;; [unrolled: 1-line block ×4, first 2 shown]
	v_dual_mov_b32 v52, v80 :: v_dual_mov_b32 v53, v81
	s_mov_b32 s3, -1
	s_waitcnt vmcnt(1)
	v_mul_f64 v[88:89], v[49:50], v[24:25]
	v_mul_f64 v[24:25], v[149:150], v[24:25]
	scratch_load_b64 v[149:150], off, off offset:208 ; 8-byte Folded Reload
	v_mul_f64 v[18:19], v[145:146], v[88:89]
	scratch_store_b128 off, v[28:31], off offset:600 ; 16-byte Folded Spill
	scratch_load_b64 v[30:31], off, off offset:544 ; 8-byte Folded Reload
	scratch_store_b64 off, v[18:19], off offset:576 ; 8-byte Folded Spill
	s_waitcnt vmcnt(1)
	v_mul_f64 v[32:33], v[149:150], v[32:33]
	v_mul_f64 v[28:29], v[149:150], v[28:29]
	v_mul_f64 v[136:137], v[149:150], v[145:146]
	scratch_load_b64 v[149:150], off, off offset:200 ; 8-byte Folded Reload
	s_waitcnt vmcnt(1)
	v_fma_f64 v[49:50], v[22:23], 2.0, v[30:31]
	v_mul_f64 v[18:19], v[145:146], v[32:33]
	s_delay_alu instid0(VALU_DEP_2)
	v_mul_f64 v[88:89], v[49:50], v[36:37]
	scratch_load_b64 v[49:50], off, off offset:192 ; 8-byte Folded Reload
	scratch_store_b64 off, v[18:19], off offset:592 ; 8-byte Folded Spill
	v_mul_f64 v[18:19], v[145:146], v[28:29]
	v_mul_f64 v[36:37], v[22:23], v[36:37]
	;; [unrolled: 1-line block ×4, first 2 shown]
	scratch_store_b64 off, v[18:19], off offset:208 ; 8-byte Folded Spill
	v_mul_f64 v[18:19], v[145:146], v[90:91]
	v_mul_f64 v[138:139], v[12:13], v[36:37]
	scratch_store_b64 off, v[18:19], off offset:456 ; 8-byte Folded Spill
	v_mul_f64 v[18:19], v[145:146], v[24:25]
	scratch_store_b64 off, v[18:19], off offset:584 ; 8-byte Folded Spill
	v_mul_f64 v[18:19], v[145:146], v[130:131]
	v_mul_f64 v[130:131], v[145:146], v[136:137]
	;; [unrolled: 1-line block ×4, first 2 shown]
	scratch_store_b64 off, v[18:19], off offset:568 ; 8-byte Folded Spill
	s_waitcnt vmcnt(1)
	v_mul_f64 v[24:25], v[149:150], v[46:47]
	v_mul_f64 v[143:144], v[149:150], v[42:43]
	s_waitcnt vmcnt(0)
	v_mul_f64 v[90:91], v[49:50], v[38:39]
	scratch_load_b64 v[49:50], off, off offset:112 ; 8-byte Folded Reload
	v_mul_f64 v[100:101], v[102:103], v[38:39]
	v_mul_f64 v[38:39], v[22:23], v[40:41]
	v_mul_f64 v[40:41], v[30:31], v[40:41]
	v_mul_f64 v[46:47], v[102:103], v[46:47]
	v_mul_f64 v[22:23], v[149:150], v[14:15]
	v_mul_f64 v[102:103], v[102:103], v[42:43]
	v_mul_f64 v[42:43], v[12:13], v[28:29]
	v_dual_mov_b32 v31, v11 :: v_dual_mov_b32 v30, v10
	v_mul_f64 v[140:141], v[14:15], v[90:91]
	v_mul_f64 v[88:89], v[14:15], v[100:101]
	v_mul_f64 v[149:150], v[12:13], v[38:39]
	v_mul_f64 v[18:19], v[12:13], v[40:41]
	v_mul_f64 v[40:41], v[12:13], v[44:45]
	v_mul_f64 v[100:101], v[151:152], v[136:137]
	v_mul_f64 v[90:91], v[14:15], v[102:103]
	v_mul_f64 v[32:33], v[14:15], v[22:23]
	v_dual_mov_b32 v137, v17 :: v_dual_mov_b32 v136, v16
	v_dual_mov_b32 v22, v132 :: v_dual_mov_b32 v23, v133
	v_mul_f64 v[42:43], v[68:69], v[42:43]
	s_clause 0x1
	scratch_load_b64 v[38:39], off, off offset:216
	scratch_load_b64 v[44:45], off, off offset:432
	v_mul_f64 v[102:103], v[153:154], v[140:141]
	v_add_f64 v[140:141], v[176:177], -v[182:183]
	scratch_store_b64 off, v[18:19], off offset:544 ; 8-byte Folded Spill
	v_mul_f64 v[18:19], v[14:15], v[24:25]
	v_mul_f64 v[24:25], v[124:125], v[138:139]
	;; [unrolled: 1-line block ×3, first 2 shown]
	scratch_store_b64 off, v[18:19], off offset:616 ; 8-byte Folded Spill
	v_mul_f64 v[18:19], v[14:15], v[143:144]
	v_fma_f64 v[42:43], v[70:71], v[100:101], v[42:43]
	scratch_store_b64 off, v[18:19], off offset:200 ; 8-byte Folded Spill
	v_mul_f64 v[18:19], v[14:15], v[46:47]
	v_mul_f64 v[46:47], v[12:13], v[145:146]
	;; [unrolled: 1-line block ×3, first 2 shown]
	v_add_f64 v[14:15], v[168:169], -v[20:21]
	v_dual_mov_b32 v150, v148 :: v_dual_mov_b32 v149, v147
	s_delay_alu instid0(VALU_DEP_3) | instskip(SKIP_4) | instid1(VALU_DEP_2)
	v_fma_f64 v[12:13], v[151:152], v[24:25], v[12:13]
	scratch_store_b64 off, v[12:13], off offset:184 ; 8-byte Folded Spill
	v_mul_f64 v[12:13], v[120:121], v[90:91]
	v_mul_f64 v[90:91], v[114:115], v[88:89]
	;; [unrolled: 1-line block ×3, first 2 shown]
	v_fma_f64 v[12:13], v[153:154], v[90:91], v[12:13]
	v_mul_f64 v[90:91], v[68:69], v[138:139]
	s_delay_alu instid0(VALU_DEP_3)
	v_mul_f64 v[28:29], v[153:154], v[88:89]
	v_add_f64 v[88:89], v[155:156], -v[157:158]
	scratch_store_b64 off, v[12:13], off offset:624 ; 8-byte Folded Spill
	v_mul_f64 v[24:25], v[151:152], v[90:91]
	v_dual_mov_b32 v152, v77 :: v_dual_mov_b32 v151, v76
	v_add_f64 v[90:91], v[174:175], -v[74:75]
	s_delay_alu instid0(VALU_DEP_2) | instskip(NEXT) | instid1(VALU_DEP_1)
	v_add_f64 v[12:13], v[151:152], -v[112:113]
	v_mul_f64 v[12:13], v[12:13], s[4:5]
	s_delay_alu instid0(VALU_DEP_1) | instskip(SKIP_3) | instid1(VALU_DEP_3)
	v_fma_f64 v[12:13], v[14:15], s[8:9], -v[12:13]
	v_add_f64 v[14:15], v[149:150], -v[56:57]
	v_add_f64 v[56:57], v[56:57], -v[112:113]
	s_waitcnt vmcnt(2)
	v_mul_f64 v[12:13], v[49:50], v[12:13]
	scratch_load_b64 v[49:50], off, off offset:168 ; 8-byte Folded Reload
	v_mul_f64 v[14:15], v[14:15], s[4:5]
	v_mul_f64 v[56:57], v[56:57], s[4:5]
	s_delay_alu instid0(VALU_DEP_2) | instskip(SKIP_2) | instid1(VALU_DEP_2)
	v_fma_f64 v[14:15], v[88:89], s[8:9], -v[14:15]
	v_add_f64 v[88:89], v[178:179], -v[62:63]
	s_waitcnt vmcnt(0)
	v_fma_f64 v[12:13], v[49:50], v[14:15], -v[12:13]
	scratch_load_b64 v[49:50], off, off offset:128 ; 8-byte Folded Reload
	v_add_f64 v[14:15], v[10:11], -v[80:81]
	s_clause 0x1
	scratch_load_b64 v[10:11], off, off offset:472
	scratch_load_b64 v[80:81], off, off offset:488
	scratch_store_b64 off, v[18:19], off offset:192 ; 8-byte Folded Spill
	v_dual_mov_b32 v18, v82 :: v_dual_mov_b32 v19, v83
	scratch_store_b64 off, v[12:13], off offset:112 ; 8-byte Folded Spill
	v_mul_f64 v[14:15], v[14:15], s[4:5]
	s_delay_alu instid0(VALU_DEP_1) | instskip(SKIP_1) | instid1(VALU_DEP_1)
	v_fma_f64 v[14:15], v[88:89], s[8:9], -v[14:15]
	s_waitcnt vmcnt(2)
	v_mul_f64 v[14:15], v[49:50], v[14:15]
	scratch_load_b64 v[49:50], off, off offset:152 ; 8-byte Folded Reload
	s_waitcnt vmcnt(2)
	v_add_f64 v[30:31], v[10:11], -v[30:31]
	s_waitcnt vmcnt(1)
	v_add_f64 v[88:89], v[10:11], -v[80:81]
	s_delay_alu instid0(VALU_DEP_1) | instskip(NEXT) | instid1(VALU_DEP_1)
	v_mul_f64 v[88:89], v[88:89], s[4:5]
	v_fma_f64 v[88:89], v[90:91], s[8:9], -v[88:89]
	v_add_f64 v[90:91], v[170:171], -v[180:181]
	s_waitcnt vmcnt(0)
	s_delay_alu instid0(VALU_DEP_2) | instskip(SKIP_3) | instid1(VALU_DEP_1)
	v_fma_f64 v[12:13], v[49:50], v[88:89], -v[14:15]
	v_add_f64 v[88:89], v[84:85], -v[105:106]
	scratch_store_b64 off, v[12:13], off offset:128 ; 8-byte Folded Spill
	v_mul_f64 v[88:89], v[88:89], s[4:5]
	v_fma_f64 v[88:89], v[90:91], s[8:9], -v[88:89]
	v_add_f64 v[90:91], v[82:83], -v[8:9]
	v_dual_mov_b32 v82, v105 :: v_dual_mov_b32 v83, v106
	s_delay_alu instid0(VALU_DEP_2) | instskip(NEXT) | instid1(VALU_DEP_1)
	v_mul_f64 v[90:91], v[90:91], s[4:5]
	v_fma_f64 v[90:91], v[140:141], s[8:9], -v[90:91]
	v_mul_f64 v[140:141], v[136:137], v[38:39]
	s_delay_alu instid0(VALU_DEP_1) | instskip(NEXT) | instid1(VALU_DEP_1)
	v_mul_f64 v[140:141], v[136:137], v[140:141]
	v_mul_f64 v[90:91], v[140:141], v[90:91]
	;; [unrolled: 1-line block ×3, first 2 shown]
	s_delay_alu instid0(VALU_DEP_1) | instskip(NEXT) | instid1(VALU_DEP_1)
	v_mul_f64 v[140:141], v[66:67], v[140:141]
	v_fma_f64 v[12:13], v[140:141], v[88:89], -v[90:91]
	v_dual_mov_b32 v89, v67 :: v_dual_mov_b32 v88, v66
	scratch_store_b64 off, v[12:13], off offset:152 ; 8-byte Folded Spill
	s_clause 0x4
	scratch_load_b64 v[54:55], off, off offset:520
	scratch_load_b64 v[76:77], off, off offset:536
	;; [unrolled: 1-line block ×5, first 2 shown]
	s_waitcnt vmcnt(3)
	v_add_f64 v[90:91], v[54:55], -v[76:77]
	s_waitcnt vmcnt(0)
	v_add_f64 v[140:141], v[153:154], -v[104:105]
	s_delay_alu instid0(VALU_DEP_2) | instskip(NEXT) | instid1(VALU_DEP_1)
	v_mul_f64 v[90:91], v[90:91], s[4:5]
	v_fma_f64 v[90:91], v[140:141], s[8:9], -v[90:91]
	v_add_f64 v[140:141], v[132:133], -v[147:148]
	s_clause 0x9
	scratch_load_b64 v[132:133], off, off offset:448
	scratch_load_b64 v[16:17], off, off offset:560
	;; [unrolled: 1-line block ×7, first 2 shown]
	scratch_load_b128 v[12:15], off, off offset:600
	scratch_load_b64 v[10:11], off, off offset:480
	scratch_load_b32 v100, off, off offset:68
	v_mul_f64 v[140:141], v[140:141], s[4:5]
	s_waitcnt vmcnt(8)
	v_add_f64 v[143:144], v[132:133], -v[16:17]
	s_delay_alu instid0(VALU_DEP_1) | instskip(SKIP_2) | instid1(VALU_DEP_1)
	v_fma_f64 v[140:141], v[143:144], s[8:9], -v[140:141]
	s_waitcnt vmcnt(7)
	v_mul_f64 v[143:144], v[172:173], v[36:37]
	v_mul_f64 v[143:144], v[172:173], v[143:144]
	s_delay_alu instid0(VALU_DEP_1) | instskip(SKIP_2) | instid1(VALU_DEP_1)
	v_mul_f64 v[140:141], v[143:144], v[140:141]
	s_waitcnt vmcnt(5)
	v_mul_f64 v[143:144], v[66:67], v[138:139]
	v_mul_f64 v[143:144], v[66:67], v[143:144]
	s_delay_alu instid0(VALU_DEP_1)
	v_fma_f64 v[90:91], v[143:144], v[90:91], -v[140:141]
	scratch_load_b64 v[140:141], off, off offset:104 ; 8-byte Folded Reload
	s_waitcnt vmcnt(4)
	v_mul_f64 v[143:144], v[145:146], v[26:27]
	v_mul_f64 v[112:113], v[49:50], v[34:35]
	v_mul_f64 v[34:35], v[145:146], v[34:35]
	s_waitcnt vmcnt(0)
	v_mul_f64 v[140:141], v[140:141], v[26:27]
	v_add_f64 v[26:27], v[149:150], -v[151:152]
	v_add_f64 v[149:150], v[80:81], -v[52:53]
	s_clause 0x1
	scratch_load_b64 v[52:53], off, off offset:512
	scratch_load_b64 v[80:81], off, off offset:368
	v_mul_f64 v[26:27], v[26:27], s[4:5]
	v_fma_f64 v[56:57], v[149:150], s[8:9], -v[56:57]
	scratch_load_b64 v[149:150], off, off offset:392 ; 8-byte Folded Reload
	v_mul_f64 v[145:146], v[145:146], v[14:15]
	v_mul_f64 v[14:15], v[49:50], v[14:15]
	v_fma_f64 v[26:27], v[30:31], s[8:9], -v[26:27]
	v_mul_f64 v[30:31], v[46:47], v[56:57]
	v_add_f64 v[56:57], v[76:77], -v[147:148]
	s_waitcnt vmcnt(2)
	v_mul_f64 v[68:69], v[52:53], v[24:25]
	s_waitcnt vmcnt(0)
	v_mul_f64 v[46:47], v[49:50], v[149:150]
	v_add_f64 v[49:50], v[54:55], -v[22:23]
	v_mul_f64 v[34:35], v[149:150], v[34:35]
	s_delay_alu instid0(VALU_DEP_4) | instskip(SKIP_2) | instid1(VALU_DEP_1)
	v_fma_f64 v[22:23], v[70:71], v[40:41], v[68:69]
	scratch_load_b64 v[54:55], off, off offset:528 ; 8-byte Folded Reload
	v_mul_f64 v[46:47], v[149:150], v[46:47]
	v_fma_f64 v[26:27], v[46:47], v[26:27], -v[30:31]
	v_add_f64 v[46:47], v[84:85], -v[18:19]
	v_add_f64 v[30:31], v[82:83], -v[8:9]
	scratch_load_b64 v[8:9], off, off offset:544 ; 8-byte Folded Reload
	v_add_f64 v[82:83], v[74:75], -v[62:63]
	s_clause 0x1
	scratch_load_b64 v[74:75], off, off offset:424
	scratch_load_b64 v[84:85], off, off offset:24
	v_mul_f64 v[26:27], v[26:27], s[4:5]
	v_mul_f64 v[46:47], v[46:47], s[4:5]
	;; [unrolled: 1-line block ×3, first 2 shown]
	s_delay_alu instid0(VALU_DEP_2)
	v_fma_f64 v[46:47], v[49:50], s[8:9], -v[46:47]
	scratch_load_b64 v[49:50], off, off offset:144 ; 8-byte Folded Reload
	v_fma_f64 v[30:31], v[56:57], s[8:9], -v[30:31]
	v_add_f64 v[56:57], v[174:175], -v[178:179]
	s_waitcnt vmcnt(3)
	v_fma_f64 v[62:63], v[124:125], v[8:9], v[42:43]
	scratch_load_b64 v[8:9], off, off offset:616 ; 8-byte Folded Reload
	s_waitcnt vmcnt(3)
	v_mul_f64 v[42:43], v[0:1], v[74:75]
	s_delay_alu instid0(VALU_DEP_1)
	v_mul_f64 v[42:43], v[74:75], v[42:43]
	s_waitcnt vmcnt(1)
	v_mul_f64 v[30:31], v[49:50], v[30:31]
	scratch_load_b64 v[49:50], off, off offset:160 ; 8-byte Folded Reload
	s_waitcnt vmcnt(1)
	v_mul_f64 v[40:41], v[126:127], v[8:9]
	scratch_load_b64 v[8:9], off, off offset:200 ; 8-byte Folded Reload
	v_mul_f64 v[40:41], v[4:5], v[40:41]
	s_waitcnt vmcnt(1)
	v_fma_f64 v[30:31], v[49:50], v[46:47], -v[30:31]
	v_add_f64 v[46:47], v[157:158], -v[20:21]
	v_add_f64 v[49:50], v[155:156], -v[168:169]
	s_delay_alu instid0(VALU_DEP_4) | instskip(SKIP_2) | instid1(VALU_DEP_1)
	v_fma_f64 v[40:41], v[120:121], v[102:103], v[40:41]
	scratch_load_b32 v102, off, off offset:76 ; 4-byte Folded Reload
	v_add_nc_u32_e32 v100, s2, v100
	v_ashrrev_i32_e32 v101, 31, v100
	s_delay_alu instid0(VALU_DEP_1) | instskip(SKIP_2) | instid1(VALU_DEP_2)
	v_lshlrev_b64 v[100:101], 3, v[100:101]
	v_mul_f64 v[46:47], v[46:47], s[4:5]
	v_mul_f64 v[49:50], v[49:50], s[4:5]
	v_fma_f64 v[46:47], v[82:83], s[8:9], -v[46:47]
	s_delay_alu instid0(VALU_DEP_2) | instskip(SKIP_2) | instid1(VALU_DEP_4)
	v_fma_f64 v[49:50], v[56:57], s[8:9], -v[49:50]
	v_add_f64 v[56:57], v[153:154], -v[132:133]
	v_add_f64 v[82:83], v[104:105], -v[16:17]
	v_mul_f64 v[18:19], v[32:33], v[46:47]
	v_add_f64 v[46:47], v[180:181], -v[182:183]
	s_delay_alu instid0(VALU_DEP_2) | instskip(SKIP_1) | instid1(VALU_DEP_3)
	v_fma_f64 v[18:19], v[130:131], v[49:50], -v[18:19]
	v_add_f64 v[49:50], v[170:171], -v[176:177]
	v_mul_f64 v[46:47], v[46:47], s[4:5]
	s_delay_alu instid0(VALU_DEP_3) | instskip(NEXT) | instid1(VALU_DEP_3)
	v_fma_f64 v[18:19], v[18:19], s[8:9], -v[26:27]
	v_mul_f64 v[49:50], v[49:50], s[4:5]
	s_delay_alu instid0(VALU_DEP_3) | instskip(SKIP_2) | instid1(VALU_DEP_4)
	v_fma_f64 v[46:47], v[82:83], s[8:9], -v[46:47]
	v_mul_f64 v[82:83], v[149:150], v[145:146]
	v_mul_f64 v[26:27], v[30:31], s[4:5]
	v_fma_f64 v[49:50], v[56:57], s[8:9], -v[49:50]
	scratch_load_b64 v[56:57], off, off offset:120 ; 8-byte Folded Reload
	v_mul_f64 v[82:83], v[72:73], v[82:83]
	s_waitcnt vmcnt(2)
	v_fma_f64 v[20:21], v[114:115], v[8:9], v[40:41]
	scratch_load_b64 v[8:9], off, off offset:192 ; 8-byte Folded Reload
	v_mul_f64 v[40:41], v[52:53], v[28:29]
	scratch_load_b64 v[28:29], off, off offset:496 ; 8-byte Folded Reload
	s_waitcnt vmcnt(3)
	v_add_nc_u32_e32 v102, s2, v102
	s_delay_alu instid0(VALU_DEP_1) | instskip(NEXT) | instid1(VALU_DEP_1)
	v_ashrrev_i32_e32 v103, 31, v102
	v_lshlrev_b64 v[102:103], 3, v[102:103]
	s_waitcnt vmcnt(2)
	v_mul_f64 v[46:47], v[56:57], v[46:47]
	scratch_load_b64 v[56:57], off, off offset:136 ; 8-byte Folded Reload
	s_waitcnt vmcnt(1)
	v_mul_f64 v[68:69], v[28:29], v[28:29]
	s_delay_alu instid0(VALU_DEP_1) | instskip(NEXT) | instid1(VALU_DEP_1)
	v_fma_f64 v[68:69], v[0:1], v[42:43], v[68:69]
	v_mul_f64 v[68:69], v[10:11], v[68:69]
	s_waitcnt vmcnt(0)
	v_fma_f64 v[46:47], v[56:57], v[49:50], -v[46:47]
	v_mul_f64 v[49:50], v[149:150], v[112:113]
	v_mul_f64 v[56:57], v[149:150], v[140:141]
	s_delay_alu instid0(VALU_DEP_3) | instskip(NEXT) | instid1(VALU_DEP_3)
	v_fma_f64 v[26:27], v[46:47], s[8:9], -v[26:27]
	v_mul_f64 v[49:50], v[78:79], v[49:50]
	s_delay_alu instid0(VALU_DEP_3) | instskip(NEXT) | instid1(VALU_DEP_2)
	v_mul_f64 v[56:57], v[84:85], v[56:57]
	v_mul_f64 v[49:50], v[4:5], v[49:50]
	s_delay_alu instid0(VALU_DEP_1) | instskip(SKIP_1) | instid1(VALU_DEP_1)
	v_fma_f64 v[49:50], v[72:73], v[56:57], v[49:50]
	v_mul_f64 v[56:57], v[149:150], v[14:15]
	v_fma_f64 v[49:50], v[162:163], v[56:57], v[49:50]
	v_mul_f64 v[56:57], v[149:150], v[143:144]
	s_delay_alu instid0(VALU_DEP_2) | instskip(NEXT) | instid1(VALU_DEP_2)
	v_add_f64 v[62:63], v[49:50], -v[62:63]
	v_mul_f64 v[78:79], v[78:79], v[56:57]
	v_mul_f64 v[56:57], v[162:163], v[56:57]
	s_delay_alu instid0(VALU_DEP_3) | instskip(NEXT) | instid1(VALU_DEP_3)
	v_mul_f64 v[16:17], v[62:63], s[4:5]
	v_mul_f64 v[78:79], v[84:85], v[78:79]
	s_delay_alu instid0(VALU_DEP_3) | instskip(SKIP_4) | instid1(VALU_DEP_1)
	v_fma_f64 v[56:57], v[84:85], v[56:57], v[82:83]
	s_clause 0x1
	scratch_load_b32 v84, off, off offset:64
	scratch_load_b64 v[82:83], off, off offset:376
	v_mul_f64 v[78:79], v[52:53], v[78:79]
	v_fma_f64 v[34:35], v[72:73], v[34:35], v[78:79]
	s_clause 0x1
	scratch_load_b64 v[78:79], off, off offset:352
	scratch_load_b32 v104, off, off offset:72
	v_fma_f64 v[76:77], v[120:121], v[8:9], v[40:41]
	scratch_load_b64 v[8:9], off, off offset:504 ; 8-byte Folded Reload
	v_add_f64 v[34:35], v[34:35], -v[22:23]
	s_delay_alu instid0(VALU_DEP_1) | instskip(SKIP_2) | instid1(VALU_DEP_1)
	v_mul_f64 v[34:35], v[34:35], s[4:5]
	s_waitcnt vmcnt(4)
	v_add_nc_u32_e32 v84, s2, v84
	v_ashrrev_i32_e32 v85, 31, v84
	s_delay_alu instid0(VALU_DEP_1)
	v_lshlrev_b64 v[84:85], 3, v[84:85]
	s_waitcnt vmcnt(2)
	v_fma_f64 v[70:71], v[10:11], 2.0, v[78:79]
	s_waitcnt vmcnt(1)
	v_add_nc_u32_e32 v104, s2, v104
	s_waitcnt vmcnt(0)
	v_mul_f64 v[40:41], v[4:5], v[8:9]
	s_delay_alu instid0(VALU_DEP_2) | instskip(NEXT) | instid1(VALU_DEP_1)
	v_ashrrev_i32_e32 v105, 31, v104
	v_lshlrev_b64 v[104:105], 3, v[104:105]
	v_mul_f64 v[72:73], v[70:71], v[28:29]
	s_delay_alu instid0(VALU_DEP_4) | instskip(NEXT) | instid1(VALU_DEP_1)
	v_mul_f64 v[40:41], v[8:9], v[40:41]
	v_mul_f64 v[40:41], v[4:5], v[40:41]
	s_delay_alu instid0(VALU_DEP_1) | instskip(SKIP_1) | instid1(VALU_DEP_2)
	v_fma_f64 v[42:43], v[0:1], v[42:43], v[40:41]
	v_fma_f64 v[40:41], v[28:29], v[28:29], v[40:41]
	v_mul_f64 v[42:43], v[10:11], v[42:43]
	s_delay_alu instid0(VALU_DEP_2) | instskip(NEXT) | instid1(VALU_DEP_2)
	v_mul_f64 v[40:41], v[10:11], v[40:41]
	v_fma_f64 v[42:43], v[28:29], v[72:73], v[42:43]
	v_add_f64 v[72:73], v[10:11], v[78:79]
	scratch_load_b64 v[10:11], off, off offset:416 ; 8-byte Folded Reload
	v_mul_f64 v[78:79], v[70:71], v[8:9]
	v_mul_f64 v[70:71], v[70:71], v[74:75]
	s_delay_alu instid0(VALU_DEP_2) | instskip(NEXT) | instid1(VALU_DEP_2)
	v_mul_f64 v[78:79], v[4:5], v[78:79]
	v_mul_f64 v[70:71], v[0:1], v[70:71]
	s_delay_alu instid0(VALU_DEP_2) | instskip(NEXT) | instid1(VALU_DEP_2)
	;; [unrolled: 3-line block ×3, first 2 shown]
	v_fma_f64 v[68:69], v[4:5], v[78:79], v[68:69]
	v_fma_f64 v[40:41], v[0:1], v[70:71], v[40:41]
	s_waitcnt vmcnt(0)
	v_mul_f64 v[70:71], v[10:11], v[72:73]
	s_delay_alu instid0(VALU_DEP_3) | instskip(NEXT) | instid1(VALU_DEP_3)
	v_mul_f64 v[68:69], v[10:11], v[68:69]
	v_mul_f64 v[40:41], v[10:11], v[40:41]
	;; [unrolled: 1-line block ×3, first 2 shown]
	s_delay_alu instid0(VALU_DEP_4) | instskip(SKIP_1) | instid1(VALU_DEP_2)
	v_mul_f64 v[72:73], v[74:75], v[70:71]
	v_mul_f64 v[70:71], v[70:71], v[8:9]
	;; [unrolled: 1-line block ×4, first 2 shown]
	s_delay_alu instid0(VALU_DEP_3) | instskip(SKIP_1) | instid1(VALU_DEP_3)
	v_mul_f64 v[70:71], v[70:71], v[28:29]
	v_mul_f64 v[72:73], v[72:73], v[28:29]
	;; [unrolled: 1-line block ×4, first 2 shown]
	s_delay_alu instid0(VALU_DEP_4) | instskip(NEXT) | instid1(VALU_DEP_4)
	v_mul_f64 v[70:71], v[54:55], v[70:71]
	v_mul_f64 v[72:73], v[52:53], v[72:73]
	;; [unrolled: 1-line block ×5, first 2 shown]
	s_delay_alu instid0(VALU_DEP_2) | instskip(NEXT) | instid1(VALU_DEP_2)
	v_fma_f64 v[68:69], v[78:79], v[80:81], v[68:69]
	v_fma_f64 v[40:41], v[78:79], v[82:83], v[40:41]
	v_mul_f64 v[78:79], v[70:71], v[82:83]
	scratch_load_b64 v[82:83], off, off offset:272 ; 8-byte Folded Reload
	v_fma_f64 v[78:79], v[80:81], v[72:73], v[78:79]
	scratch_load_b64 v[80:81], off, off offset:360 ; 8-byte Folded Reload
	s_waitcnt vmcnt(0)
	v_fma_f64 v[74:75], v[70:71], v[80:81], v[68:69]
	s_clause 0x1
	scratch_load_b64 v[68:69], off, off offset:312
	scratch_load_b64 v[70:71], off, off offset:328
	v_fma_f64 v[40:41], v[72:73], v[80:81], v[40:41]
	scratch_load_b64 v[72:73], off, off offset:288 ; 8-byte Folded Reload
	v_fma_f64 v[42:43], v[80:81], v[42:43], v[78:79]
	s_clause 0x1
	scratch_load_b64 v[78:79], off, off offset:296
	scratch_load_b64 v[80:81], off, off offset:280
	v_add_f64 v[40:41], v[64:65], v[40:41]
	s_waitcnt vmcnt(4)
	v_add_co_u32 v68, vcc_lo, s18, v68
	v_add_co_ci_u32_e32 v69, vcc_lo, s19, v69, vcc_lo
	s_waitcnt vmcnt(3)
	v_add_co_u32 v70, vcc_lo, s18, v70
	v_add_co_ci_u32_e32 v71, vcc_lo, s19, v71, vcc_lo
	;; [unrolled: 3-line block ×5, first 2 shown]
	v_add_co_u32 v82, vcc_lo, s18, v82
	v_add_co_ci_u32_e32 v83, vcc_lo, s19, v83, vcc_lo
	v_add_co_u32 v84, vcc_lo, s18, v84
	v_add_co_ci_u32_e32 v85, vcc_lo, s19, v85, vcc_lo
	;; [unrolled: 2-line block ×5, first 2 shown]
	s_clause 0x5
	global_load_b64 v[68:69], v[68:69], off
	global_load_b64 v[84:85], v[84:85], off
	;; [unrolled: 1-line block ×6, first 2 shown]
	s_clause 0x2
	scratch_load_b64 v[112:113], off, off offset:264
	scratch_load_b64 v[130:131], off, off offset:40
	scratch_load_b128 v[8:11], off, off offset:400
	s_waitcnt vmcnt(7)
	v_mul_f64 v[30:31], v[38:39], v[84:85]
	s_waitcnt vmcnt(4)
	v_mul_f64 v[49:50], v[138:139], v[104:105]
	;; [unrolled: 2-line block ×4, first 2 shown]
	v_mul_f64 v[114:115], v[130:131], v[84:85]
	v_mul_f64 v[30:31], v[136:137], v[30:31]
	;; [unrolled: 1-line block ×12, first 2 shown]
	s_waitcnt vmcnt(0)
	s_delay_alu instid0(VALU_DEP_4) | instskip(NEXT) | instid1(VALU_DEP_3)
	v_mul_f64 v[112:113], v[8:9], v[112:113]
	v_fma_f64 v[114:115], v[8:9], v[120:121], v[114:115]
	s_clause 0x3
	global_load_b64 v[70:71], v[70:71], off
	global_load_b64 v[100:101], v[100:101], off
	;; [unrolled: 1-line block ×4, first 2 shown]
	s_clause 0x1
	scratch_load_b64 v[120:121], off, off offset:256
	scratch_load_b64 v[132:133], off, off offset:48
	v_mul_f64 v[8:9], v[8:9], v[68:69]
	v_mul_f64 v[112:113], v[54:55], v[112:113]
	s_delay_alu instid0(VALU_DEP_2)
	v_mul_f64 v[8:9], v[54:55], v[8:9]
	s_waitcnt vmcnt(1)
	v_mul_f64 v[120:121], v[120:121], v[70:71]
	s_waitcnt vmcnt(0)
	v_mul_f64 v[70:71], v[132:133], v[70:71]
	v_mul_f64 v[124:125], v[132:133], v[100:101]
	s_delay_alu instid0(VALU_DEP_3) | instskip(NEXT) | instid1(VALU_DEP_3)
	v_mul_f64 v[120:121], v[172:173], v[120:121]
	v_mul_f64 v[70:71], v[172:173], v[70:71]
	s_delay_alu instid0(VALU_DEP_3) | instskip(NEXT) | instid1(VALU_DEP_3)
	;; [unrolled: 3-line block ×3, first 2 shown]
	v_mul_f64 v[126:127], v[122:123], v[70:71]
	v_mul_f64 v[124:125], v[184:185], v[124:125]
	;; [unrolled: 1-line block ×3, first 2 shown]
	s_delay_alu instid0(VALU_DEP_4) | instskip(SKIP_1) | instid1(VALU_DEP_4)
	v_mul_f64 v[68:69], v[10:11], v[120:121]
	v_mul_f64 v[120:121], v[44:45], v[78:79]
	v_fma_f64 v[124:125], v[10:11], v[126:127], v[124:125]
	s_delay_alu instid0(VALU_DEP_4)
	v_mul_f64 v[10:11], v[10:11], v[70:71]
	v_mul_f64 v[70:71], v[38:39], v[72:73]
	;; [unrolled: 1-line block ×8, first 2 shown]
	s_delay_alu instid0(VALU_DEP_2)
	v_fma_f64 v[70:71], v[86:87], v[70:71], v[112:113]
	scratch_load_b64 v[86:87], off, off offset:320 ; 8-byte Folded Reload
	v_fma_f64 v[8:9], v[188:189], v[72:73], v[8:9]
	v_mul_f64 v[72:73], v[36:37], v[80:81]
	v_mul_f64 v[36:37], v[36:37], v[100:101]
	v_fma_f64 v[30:31], v[54:55], v[30:31], v[70:71]
	s_delay_alu instid0(VALU_DEP_3) | instskip(NEXT) | instid1(VALU_DEP_3)
	v_mul_f64 v[72:73], v[172:173], v[72:73]
	v_mul_f64 v[36:37], v[172:173], v[36:37]
	s_delay_alu instid0(VALU_DEP_2) | instskip(SKIP_1) | instid1(VALU_DEP_3)
	v_fma_f64 v[68:69], v[186:187], v[72:73], v[68:69]
	v_mul_f64 v[72:73], v[132:133], v[80:81]
	v_mul_f64 v[36:37], v[122:123], v[36:37]
	s_delay_alu instid0(VALU_DEP_2) | instskip(NEXT) | instid1(VALU_DEP_1)
	v_mul_f64 v[72:73], v[172:173], v[72:73]
	v_fma_f64 v[10:11], v[184:185], v[72:73], v[10:11]
	s_waitcnt vmcnt(0)
	v_add_co_u32 v86, vcc_lo, s18, v86
	v_add_co_ci_u32_e32 v87, vcc_lo, s19, v87, vcc_lo
	global_load_b64 v[86:87], v[86:87], off
	s_clause 0x3
	scratch_load_b64 v[112:113], off, off offset:248
	scratch_load_b64 v[12:13], off, off offset:592
	;; [unrolled: 1-line block ×4, first 2 shown]
	s_waitcnt vmcnt(3)
	v_mul_f64 v[112:113], v[112:113], v[86:87]
	s_waitcnt vmcnt(2)
	v_mul_f64 v[32:33], v[164:165], v[12:13]
	scratch_load_b64 v[12:13], off, off offset:576 ; 8-byte Folded Reload
	v_mul_f64 v[112:113], v[88:89], v[112:113]
	v_mul_f64 v[32:33], v[4:5], v[32:33]
	s_delay_alu instid0(VALU_DEP_2)
	v_mul_f64 v[112:113], v[190:191], v[112:113]
	s_waitcnt vmcnt(0)
	v_mul_f64 v[72:73], v[2:3], v[12:13]
	scratch_load_b64 v[12:13], off, off offset:456 ; 8-byte Folded Reload
	v_mul_f64 v[28:29], v[128:129], v[14:15]
	v_fma_f64 v[32:33], v[166:167], v[72:73], v[32:33]
	v_mul_f64 v[72:73], v[164:165], v[14:15]
	scratch_load_b64 v[14:15], off, off offset:128 ; 8-byte Folded Reload
	v_mul_f64 v[72:73], v[2:3], v[72:73]
	s_delay_alu instid0(VALU_DEP_1) | instskip(SKIP_1) | instid1(VALU_DEP_1)
	v_mul_f64 v[72:73], v[52:53], v[72:73]
	s_waitcnt vmcnt(1)
	v_fma_f64 v[72:73], v[166:167], v[12:13], v[72:73]
	scratch_load_b64 v[12:13], off, off offset:568 ; 8-byte Folded Reload
	v_add_f64 v[72:73], v[72:73], -v[76:77]
	s_delay_alu instid0(VALU_DEP_1)
	v_fma_f64 v[22:23], v[72:73], s[8:9], -v[34:35]
	v_fma_f64 v[34:35], v[54:55], v[36:37], v[68:69]
	s_waitcnt vmcnt(0)
	v_mul_f64 v[80:81], v[166:167], v[12:13]
	scratch_load_b64 v[12:13], off, off offset:208 ; 8-byte Folded Reload
	v_fma_f64 v[2:3], v[2:3], v[28:29], v[80:81]
	scratch_load_b64 v[28:29], off, off offset:304 ; 8-byte Folded Reload
	s_waitcnt vmcnt(1)
	v_fma_f64 v[32:33], v[128:129], v[12:13], v[32:33]
	scratch_load_b64 v[12:13], off, off offset:184 ; 8-byte Folded Reload
	v_add_f64 v[32:33], v[32:33], -v[20:21]
	s_delay_alu instid0(VALU_DEP_1)
	v_fma_f64 v[16:17], v[32:33], s[8:9], -v[16:17]
	s_waitcnt vmcnt(0)
	v_add_f64 v[24:25], v[56:57], -v[12:13]
	scratch_load_b64 v[12:13], off, off offset:624 ; 8-byte Folded Reload
	v_mul_f64 v[24:25], v[24:25], s[4:5]
	s_waitcnt vmcnt(0)
	v_add_f64 v[2:3], v[2:3], -v[12:13]
	scratch_load_b64 v[12:13], off, off offset:112 ; 8-byte Folded Reload
	v_mul_f64 v[112:113], v[126:127], v[112:113]
	v_add_co_u32 v28, vcc_lo, s18, v28
	v_add_co_ci_u32_e32 v29, vcc_lo, s19, v29, vcc_lo
	v_fma_f64 v[2:3], v[2:3], s[8:9], -v[24:25]
	v_mul_f64 v[24:25], v[44:45], v[102:103]
	v_mul_f64 v[112:113], v[54:55], v[112:113]
	;; [unrolled: 1-line block ×3, first 2 shown]
	s_delay_alu instid0(VALU_DEP_3) | instskip(NEXT) | instid1(VALU_DEP_3)
	v_mul_f64 v[24:25], v[88:89], v[24:25]
	v_fma_f64 v[112:113], v[109:110], v[120:121], v[112:113]
	scratch_load_b64 v[120:121], off, off offset:56 ; 8-byte Folded Reload
	v_mul_f64 v[44:45], v[66:67], v[44:45]
	v_mul_f64 v[24:25], v[116:117], v[24:25]
	s_delay_alu instid0(VALU_DEP_1) | instskip(NEXT) | instid1(VALU_DEP_1)
	v_fma_f64 v[24:25], v[54:55], v[24:25], v[112:113]
	v_add_f64 v[24:25], v[24:25], -v[30:31]
	v_add_f64 v[30:31], v[160:161], v[42:43]
	s_delay_alu instid0(VALU_DEP_2) | instskip(NEXT) | instid1(VALU_DEP_2)
	v_mul_f64 v[24:25], v[24:25], s[4:5]
	v_fma_f64 v[2:3], v[52:53], v[2:3], v[30:31]
	s_waitcnt vmcnt(1)
	v_mul_f64 v[12:13], v[12:13], s[4:5]
	s_delay_alu instid0(VALU_DEP_1)
	v_fma_f64 v[12:13], v[14:15], s[8:9], -v[12:13]
	scratch_load_b64 v[14:15], off, off offset:152 ; 8-byte Folded Reload
	global_load_b64 v[28:29], v[28:29], off
	s_clause 0x1
	scratch_load_b64 v[38:39], off, off offset:240
	scratch_load_b64 v[56:57], off, off offset:32
	v_add_f64 v[12:13], v[40:41], v[12:13]
	s_waitcnt vmcnt(4)
	v_mul_f64 v[86:87], v[120:121], v[86:87]
	v_mul_f64 v[78:79], v[120:121], v[78:79]
	;; [unrolled: 1-line block ×3, first 2 shown]
	s_delay_alu instid0(VALU_DEP_4) | instskip(NEXT) | instid1(VALU_DEP_4)
	v_add_f64 v[12:13], v[18:19], v[12:13]
	v_mul_f64 v[86:87], v[88:89], v[86:87]
	s_delay_alu instid0(VALU_DEP_4) | instskip(NEXT) | instid1(VALU_DEP_4)
	v_mul_f64 v[78:79], v[88:89], v[78:79]
	v_mul_f64 v[120:121], v[88:89], v[120:121]
	s_delay_alu instid0(VALU_DEP_4) | instskip(NEXT) | instid1(VALU_DEP_4)
	v_fma_f64 v[12:13], v[52:53], v[16:17], v[12:13]
	v_mul_f64 v[109:110], v[109:110], v[86:87]
	v_mul_f64 v[86:87], v[116:117], v[86:87]
	s_delay_alu instid0(VALU_DEP_4) | instskip(NEXT) | instid1(VALU_DEP_3)
	v_mul_f64 v[120:121], v[190:191], v[120:121]
	v_mul_f64 v[109:110], v[126:127], v[109:110]
	s_delay_alu instid0(VALU_DEP_2) | instskip(NEXT) | instid1(VALU_DEP_2)
	v_fma_f64 v[86:87], v[126:127], v[86:87], v[120:121]
	v_mul_f64 v[109:110], v[54:55], v[109:110]
	s_delay_alu instid0(VALU_DEP_1) | instskip(NEXT) | instid1(VALU_DEP_1)
	v_fma_f64 v[78:79], v[190:191], v[78:79], v[109:110]
	v_add_f64 v[8:9], v[78:79], -v[8:9]
	s_delay_alu instid0(VALU_DEP_1)
	v_mul_f64 v[8:9], v[8:9], s[4:5]
	s_waitcnt vmcnt(3)
	v_mul_f64 v[14:15], v[14:15], s[4:5]
	s_waitcnt vmcnt(1)
	;; [unrolled: 2-line block ×3, first 2 shown]
	v_mul_f64 v[28:29], v[56:57], v[28:29]
	v_mul_f64 v[46:47], v[56:57], v[82:83]
	;; [unrolled: 1-line block ×3, first 2 shown]
	v_fma_f64 v[14:15], v[90:91], s[8:9], -v[14:15]
	v_mul_f64 v[38:39], v[66:67], v[38:39]
	v_mul_f64 v[28:29], v[66:67], v[28:29]
	;; [unrolled: 1-line block ×4, first 2 shown]
	v_add_f64 v[56:57], v[134:135], v[74:75]
	v_mul_f64 v[38:39], v[107:108], v[38:39]
	s_delay_alu instid0(VALU_DEP_3) | instskip(NEXT) | instid1(VALU_DEP_3)
	v_mul_f64 v[20:21], v[107:108], v[20:21]
	v_add_f64 v[14:15], v[56:57], v[14:15]
	s_delay_alu instid0(VALU_DEP_3) | instskip(NEXT) | instid1(VALU_DEP_2)
	v_mul_f64 v[38:39], v[6:7], v[38:39]
	v_add_f64 v[14:15], v[26:27], v[14:15]
	s_delay_alu instid0(VALU_DEP_2) | instskip(NEXT) | instid1(VALU_DEP_2)
	v_mul_f64 v[38:39], v[54:55], v[38:39]
	v_add_f64 v[14:15], v[14:15], v[22:23]
	s_delay_alu instid0(VALU_DEP_2) | instskip(SKIP_2) | instid1(VALU_DEP_2)
	v_fma_f64 v[38:39], v[60:61], v[44:45], v[38:39]
	v_mul_f64 v[44:45], v[60:61], v[28:29]
	v_mul_f64 v[28:29], v[118:119], v[28:29]
	v_mul_f64 v[44:45], v[6:7], v[44:45]
	s_delay_alu instid0(VALU_DEP_2) | instskip(SKIP_2) | instid1(VALU_DEP_4)
	v_fma_f64 v[6:7], v[6:7], v[28:29], v[20:21]
	v_fma_f64 v[28:29], v[54:55], v[49:50], v[38:39]
	v_add_f64 v[20:21], v[86:87], -v[114:115]
	v_mul_f64 v[44:45], v[54:55], v[44:45]
	s_delay_alu instid0(VALU_DEP_4) | instskip(NEXT) | instid1(VALU_DEP_4)
	v_add_f64 v[6:7], v[6:7], -v[124:125]
	v_add_f64 v[18:19], v[28:29], -v[34:35]
	s_delay_alu instid0(VALU_DEP_4) | instskip(NEXT) | instid1(VALU_DEP_4)
	v_mul_f64 v[20:21], v[20:21], s[4:5]
	v_fma_f64 v[44:45], v[107:108], v[46:47], v[44:45]
	s_delay_alu instid0(VALU_DEP_2) | instskip(NEXT) | instid1(VALU_DEP_2)
	v_fma_f64 v[16:17], v[6:7], s[8:9], -v[20:21]
	v_add_f64 v[10:11], v[44:45], -v[10:11]
	s_delay_alu instid0(VALU_DEP_2) | instskip(NEXT) | instid1(VALU_DEP_2)
	v_fma_f64 v[2:3], v[54:55], v[16:17], v[2:3]
	v_fma_f64 v[8:9], v[10:11], s[8:9], -v[8:9]
	v_fma_f64 v[10:11], v[18:19], s[8:9], -v[24:25]
	s_delay_alu instid0(VALU_DEP_2) | instskip(NEXT) | instid1(VALU_DEP_2)
	v_add_f64 v[8:9], v[12:13], v[8:9]
	v_add_f64 v[6:7], v[14:15], v[10:11]
	s_clause 0x3
	scratch_load_b32 v10, off, off offset:336
	scratch_load_b32 v11, off, off offset:340
	;; [unrolled: 1-line block ×4, first 2 shown]
	s_waitcnt vmcnt(3)
	v_subrev_nc_u32_e32 v10, s26, v10
	s_waitcnt vmcnt(2)
	v_subrev_nc_u32_e32 v11, s26, v11
	s_waitcnt vmcnt(1)
	v_subrev_nc_u32_e32 v13, s26, v13
	s_waitcnt vmcnt(0)
	v_subrev_nc_u32_e32 v12, s26, v12
.LBB0_10:                               ; =>This Inner Loop Header: Depth=1
	s_delay_alu instid0(VALU_DEP_2) | instskip(NEXT) | instid1(VALU_DEP_2)
	v_add_nc_u32_e32 v14, s33, v13
	v_add_nc_u32_e32 v22, s33, v12
	;; [unrolled: 1-line block ×5, first 2 shown]
	v_ashrrev_i32_e32 v15, 31, v14
	v_ashrrev_i32_e32 v23, 31, v22
	;; [unrolled: 1-line block ×3, first 2 shown]
	v_add_nc_u32_e32 v56, s33, v98
	v_add_nc_u32_e32 v40, s33, v93
	v_lshlrev_b64 v[26:27], 3, v[14:15]
	v_lshlrev_b64 v[70:71], 3, v[22:23]
	;; [unrolled: 1-line block ×3, first 2 shown]
	v_ashrrev_i32_e32 v50, 31, v49
	v_add_nc_u32_e32 v62, s33, v159
	v_ashrrev_i32_e32 v39, 31, v38
	v_add_co_u32 v18, vcc_lo, s12, v26
	v_add_co_ci_u32_e32 v19, vcc_lo, s13, v27, vcc_lo
	v_add_co_u32 v22, vcc_lo, s14, v70
	v_add_co_ci_u32_e32 v23, vcc_lo, s15, v71, vcc_lo
	s_clause 0x1
	global_load_b128 v[14:17], v[18:19], off offset:8
	global_load_b128 v[18:21], v[18:19], off offset:-16
	v_add_co_u32 v24, vcc_lo, s16, v70
	v_add_co_ci_u32_e32 v25, vcc_lo, s17, v71, vcc_lo
	v_add_co_u32 v74, vcc_lo, s18, v26
	v_add_co_ci_u32_e32 v75, vcc_lo, s19, v27, vcc_lo
	;; [unrolled: 2-line block ×4, first 2 shown]
	global_load_b64 v[76:77], v[22:23], off
	global_load_b64 v[78:79], v[24:25], off
	s_clause 0x3
	global_load_b128 v[22:25], v[26:27], off offset:8
	global_load_b128 v[26:29], v[26:27], off offset:-16
	global_load_b128 v[30:33], v[34:35], off offset:8
	global_load_b128 v[34:37], v[34:35], off offset:-16
	global_load_b64 v[74:75], v[74:75], off
	v_add_co_u32 v70, vcc_lo, s18, v70
	v_add_co_ci_u32_e32 v71, vcc_lo, s19, v71, vcc_lo
	v_add_nc_u32_e32 v42, s33, v96
	v_ashrrev_i32_e32 v57, 31, v56
	v_add_nc_u32_e32 v64, s33, v97
	global_load_b64 v[70:71], v[70:71], off
	v_ashrrev_i32_e32 v41, 31, v40
	v_lshlrev_b64 v[49:50], 3, v[49:50]
	v_ashrrev_i32_e32 v63, 31, v62
	v_lshlrev_b64 v[38:39], 3, v[38:39]
	;; [unrolled: 2-line block ×4, first 2 shown]
	v_add_co_u32 v72, vcc_lo, s18, v72
	v_lshlrev_b64 v[62:63], 3, v[62:63]
	v_add_co_ci_u32_e32 v73, vcc_lo, s19, v73, vcc_lo
	v_add_co_u32 v49, s2, s12, v49
	v_lshlrev_b64 v[42:43], 3, v[42:43]
	v_add_co_u32 v38, vcc_lo, s18, v38
	v_add_co_ci_u32_e64 v50, s2, s13, v50, s2
	v_lshlrev_b64 v[64:65], 3, v[64:65]
	v_add_co_ci_u32_e32 v39, vcc_lo, s19, v39, vcc_lo
	v_add_co_u32 v56, s2, s12, v56
	v_add_co_u32 v40, vcc_lo, s12, v40
	v_add_co_ci_u32_e64 v57, s2, s13, v57, s2
	v_add_co_ci_u32_e32 v41, vcc_lo, s13, v41, vcc_lo
	v_add_co_u32 v62, s2, s12, v62
	v_add_co_u32 v42, vcc_lo, s12, v42
	v_add_co_ci_u32_e64 v63, s2, s13, v63, s2
	v_add_co_ci_u32_e32 v43, vcc_lo, s13, v43, vcc_lo
	v_add_co_u32 v64, s2, s12, v64
	s_delay_alu instid0(VALU_DEP_1)
	v_add_co_ci_u32_e64 v65, s2, s13, v65, s2
	global_load_b64 v[72:73], v[72:73], off
	s_clause 0x5
	global_load_b64 v[40:41], v[40:41], off
	global_load_b64 v[42:43], v[42:43], off
	global_load_b64 v[49:50], v[49:50], off
	global_load_b64 v[56:57], v[56:57], off
	global_load_b64 v[62:63], v[62:63], off
	global_load_b64 v[64:65], v[64:65], off
	v_add_nc_u32_e32 v44, s33, v92
	v_add_nc_u32_e32 v46, s33, v99
	;; [unrolled: 1-line block ×5, first 2 shown]
	v_ashrrev_i32_e32 v45, 31, v44
	v_ashrrev_i32_e32 v47, 31, v46
	;; [unrolled: 1-line block ×4, first 2 shown]
	v_add_nc_u32_e32 v68, s33, v95
	v_lshlrev_b64 v[44:45], 3, v[44:45]
	v_lshlrev_b64 v[46:47], 3, v[46:47]
	;; [unrolled: 1-line block ×3, first 2 shown]
	v_ashrrev_i32_e32 v67, 31, v66
	v_lshlrev_b64 v[60:61], 3, v[60:61]
	v_ashrrev_i32_e32 v69, 31, v68
	v_add_co_u32 v44, vcc_lo, s12, v44
	v_add_co_ci_u32_e32 v45, vcc_lo, s13, v45, vcc_lo
	v_add_co_u32 v46, vcc_lo, s12, v46
	v_add_co_ci_u32_e32 v47, vcc_lo, s13, v47, vcc_lo
	v_lshlrev_b64 v[66:67], 3, v[66:67]
	v_add_co_u32 v58, vcc_lo, s12, v58
	v_add_co_ci_u32_e32 v59, vcc_lo, s13, v59, vcc_lo
	v_lshlrev_b64 v[68:69], 3, v[68:69]
	v_add_co_u32 v60, vcc_lo, s12, v60
	v_add_co_ci_u32_e32 v61, vcc_lo, s13, v61, vcc_lo
	v_add_co_u32 v66, vcc_lo, s12, v66
	v_add_co_ci_u32_e32 v67, vcc_lo, s13, v67, vcc_lo
	;; [unrolled: 2-line block ×3, first 2 shown]
	global_load_b64 v[38:39], v[38:39], off
	s_clause 0x5
	global_load_b64 v[44:45], v[44:45], off
	global_load_b64 v[46:47], v[46:47], off
	;; [unrolled: 1-line block ×6, first 2 shown]
	v_add_nc_u32_e32 v94, s21, v94
	v_add_nc_u32_e32 v95, s21, v95
	;; [unrolled: 1-line block ×16, first 2 shown]
	s_waitcnt vmcnt(22)
	v_add_f64 v[16:17], v[16:17], -v[18:19]
	v_add_f64 v[14:15], v[14:15], -v[20:21]
	s_waitcnt vmcnt(20)
	v_fma_f64 v[18:19], v[76:77], 2.0, v[78:79]
	s_waitcnt vmcnt(18)
	v_add_f64 v[24:25], v[24:25], -v[26:27]
	v_add_f64 v[22:23], v[22:23], -v[28:29]
	s_waitcnt vmcnt(16)
	v_add_f64 v[20:21], v[32:33], -v[34:35]
	v_add_nc_u32_e32 v32, s3, v48
	s_waitcnt vmcnt(15)
	v_mul_f64 v[26:27], v[76:77], v[74:75]
	v_add_f64 v[28:29], v[30:31], -v[36:37]
	s_add_i32 s3, s3, 6
	v_ashrrev_i32_e32 v33, 31, v32
	s_cmp_eq_u32 s3, 47
	s_delay_alu instid0(VALU_DEP_1) | instskip(NEXT) | instid1(VALU_DEP_1)
	v_lshlrev_b64 v[32:33], 3, v[32:33]
	v_add_co_u32 v32, vcc_lo, s10, v32
	s_delay_alu instid0(VALU_DEP_2)
	v_add_co_ci_u32_e32 v33, vcc_lo, s11, v33, vcc_lo
	v_mul_f64 v[16:17], v[16:17], s[4:5]
	global_load_b64 v[32:33], v[32:33], off
	v_mul_f64 v[30:31], v[18:19], v[74:75]
	v_mul_f64 v[24:25], v[24:25], s[4:5]
	;; [unrolled: 1-line block ×3, first 2 shown]
	s_waitcnt vmcnt(15)
	v_mul_f64 v[26:27], v[26:27], v[70:71]
	s_waitcnt vmcnt(14)
	v_mul_f64 v[36:37], v[76:77], v[72:73]
	v_mul_f64 v[18:19], v[18:19], v[72:73]
	s_waitcnt vmcnt(10)
	v_add_f64 v[34:35], v[49:50], -v[56:57]
	v_fma_f64 v[14:15], v[14:15], s[8:9], -v[16:17]
	v_add_f64 v[16:17], v[40:41], -v[42:43]
	s_waitcnt vmcnt(8)
	v_add_f64 v[40:41], v[62:63], -v[64:65]
	v_mul_f64 v[30:31], v[30:31], v[70:71]
	v_fma_f64 v[22:23], v[22:23], s[8:9], -v[24:25]
	v_fma_f64 v[20:21], v[28:29], s[8:9], -v[20:21]
	v_mul_f64 v[36:37], v[70:71], v[36:37]
	v_mul_f64 v[18:19], v[70:71], v[18:19]
	;; [unrolled: 1-line block ×3, first 2 shown]
	s_waitcnt vmcnt(7)
	v_mul_f64 v[28:29], v[76:77], v[38:39]
	v_mul_f64 v[38:39], v[78:79], v[38:39]
	s_waitcnt vmcnt(5)
	v_add_f64 v[42:43], v[44:45], -v[46:47]
	v_mul_f64 v[46:47], v[78:79], v[72:73]
	s_waitcnt vmcnt(3)
	v_add_f64 v[44:45], v[58:59], -v[60:61]
	s_waitcnt vmcnt(1)
	v_add_f64 v[49:50], v[66:67], -v[68:69]
	v_mul_f64 v[24:25], v[26:27], v[14:15]
	v_mul_f64 v[16:17], v[16:17], s[4:5]
	;; [unrolled: 1-line block ×9, first 2 shown]
	v_fma_f64 v[34:35], v[44:45], s[8:9], -v[34:35]
	v_mul_f64 v[24:25], v[0:1], v[24:25]
	v_fma_f64 v[16:17], v[42:43], s[8:9], -v[16:17]
	v_fma_f64 v[40:41], v[49:50], s[8:9], -v[40:41]
	v_mul_f64 v[30:31], v[0:1], v[30:31]
	v_mul_f64 v[42:43], v[0:1], v[56:57]
	;; [unrolled: 1-line block ×8, first 2 shown]
	v_fma_f64 v[14:15], v[52:53], v[30:31], v[14:15]
	v_mul_f64 v[30:31], v[52:53], v[42:43]
	v_mul_f64 v[18:19], v[4:5], v[18:19]
	v_fma_f64 v[22:23], v[46:47], v[22:23], v[24:25]
	v_mul_f64 v[24:25], v[78:79], v[74:75]
	v_mul_f64 v[42:43], v[4:5], v[44:45]
	;; [unrolled: 1-line block ×3, first 2 shown]
	v_fma_f64 v[14:15], v[52:53], v[20:21], v[14:15]
	v_fma_f64 v[20:21], v[52:53], v[49:50], v[30:31]
	;; [unrolled: 1-line block ×3, first 2 shown]
	v_mul_f64 v[22:23], v[24:25], v[70:71]
	v_mul_f64 v[24:25], v[28:29], v[40:41]
	v_mul_f64 v[26:27], v[38:39], v[34:35]
	v_fma_f64 v[14:15], v[54:55], v[42:43], v[14:15]
	v_fma_f64 v[20:21], v[54:55], v[36:37], v[20:21]
	;; [unrolled: 1-line block ×3, first 2 shown]
	s_delay_alu instid0(VALU_DEP_3) | instskip(NEXT) | instid1(VALU_DEP_3)
	v_fma_f64 v[14:15], v[22:23], v[34:35], v[14:15]
	v_fma_f64 v[18:19], v[54:55], v[26:27], v[20:21]
	s_delay_alu instid0(VALU_DEP_3) | instskip(SKIP_1) | instid1(VALU_DEP_3)
	v_fma_f64 v[16:17], v[54:55], v[24:25], v[16:17]
	s_waitcnt vmcnt(0)
	v_fma_f64 v[8:9], v[32:33], v[14:15], v[8:9]
	s_delay_alu instid0(VALU_DEP_3) | instskip(NEXT) | instid1(VALU_DEP_3)
	v_fma_f64 v[2:3], v[32:33], v[18:19], v[2:3]
	v_fma_f64 v[6:7], v[32:33], v[16:17], v[6:7]
	s_cbranch_scc0 .LBB0_10
; %bb.11:
	s_clause 0x1
	scratch_load_b64 v[20:21], off, off
	scratch_load_b64 v[10:11], off, off offset:8
	v_mul_f64 v[0:1], v[0:1], v[4:5]
	s_load_b128 s[0:3], s[0:1], 0x30
	s_waitcnt lgkmcnt(0)
	v_mul_f64 v[8:9], v[8:9], s[2:3]
	v_mul_f64 v[6:7], v[6:7], s[2:3]
	;; [unrolled: 1-line block ×3, first 2 shown]
	s_waitcnt vmcnt(1)
	s_delay_alu instid0(VALU_DEP_4)
	v_div_scale_f64 v[4:5], null, v[20:21], v[20:21], v[0:1]
	s_waitcnt vmcnt(0)
	v_add_co_u32 v10, vcc_lo, s6, v10
	v_add_co_ci_u32_e32 v11, vcc_lo, s7, v11, vcc_lo
	v_div_scale_f64 v[18:19], vcc_lo, v[0:1], v[20:21], v[0:1]
	global_load_b64 v[12:13], v[10:11], off
	v_rcp_f64_e32 v[14:15], v[4:5]
	s_waitcnt_depctr 0xfff
	v_fma_f64 v[16:17], -v[4:5], v[14:15], 1.0
	s_delay_alu instid0(VALU_DEP_1) | instskip(NEXT) | instid1(VALU_DEP_1)
	v_fma_f64 v[14:15], v[14:15], v[16:17], v[14:15]
	v_fma_f64 v[16:17], -v[4:5], v[14:15], 1.0
	s_delay_alu instid0(VALU_DEP_1) | instskip(NEXT) | instid1(VALU_DEP_1)
	v_fma_f64 v[14:15], v[14:15], v[16:17], v[14:15]
	v_mul_f64 v[16:17], v[18:19], v[14:15]
	s_delay_alu instid0(VALU_DEP_1) | instskip(NEXT) | instid1(VALU_DEP_1)
	v_fma_f64 v[4:5], -v[4:5], v[16:17], v[18:19]
	v_div_fmas_f64 v[4:5], v[4:5], v[14:15], v[16:17]
	s_waitcnt vmcnt(0)
	v_mul_f64 v[12:13], v[12:13], s[0:1]
	s_delay_alu instid0(VALU_DEP_2) | instskip(NEXT) | instid1(VALU_DEP_1)
	v_div_fixup_f64 v[0:1], v[4:5], v[20:21], v[0:1]
	v_fma_f64 v[4:5], v[0:1], v[8:9], v[12:13]
	scratch_load_b64 v[8:9], off, off offset:80 ; 8-byte Folded Reload
	global_store_b64 v[10:11], v[4:5], off
	s_waitcnt vmcnt(0)
	v_add_co_u32 v8, vcc_lo, s6, v8
	v_add_co_ci_u32_e32 v9, vcc_lo, s7, v9, vcc_lo
	global_load_b64 v[4:5], v[8:9], off
	s_waitcnt vmcnt(0)
	v_mul_f64 v[4:5], v[4:5], s[0:1]
	s_delay_alu instid0(VALU_DEP_1)
	v_fma_f64 v[4:5], v[0:1], v[6:7], v[4:5]
	scratch_load_b64 v[6:7], off, off offset:176 ; 8-byte Folded Reload
	global_store_b64 v[8:9], v[4:5], off
	s_waitcnt vmcnt(0)
	v_add_co_u32 v6, vcc_lo, s6, v6
	v_add_co_ci_u32_e32 v7, vcc_lo, s7, v7, vcc_lo
	global_load_b64 v[4:5], v[6:7], off
	s_waitcnt vmcnt(0)
	v_mul_f64 v[4:5], v[4:5], s[0:1]
	s_delay_alu instid0(VALU_DEP_1)
	v_fma_f64 v[0:1], v[0:1], v[2:3], v[4:5]
	global_store_b64 v[6:7], v[0:1], off
.LBB0_12:
	s_endpgm
	.section	.rodata,"a",@progbits
	.p2align	6, 0x0
	.amdhsa_kernel _Z7kernel1iiiiiiiiiiiiddPKdS0_S0_S0_S0_PdS0_S0_S0_S0_S0_S0_S0_
		.amdhsa_group_segment_fixed_size 0
		.amdhsa_private_segment_fixed_size 636
		.amdhsa_kernarg_size 424
		.amdhsa_user_sgpr_count 13
		.amdhsa_user_sgpr_dispatch_ptr 0
		.amdhsa_user_sgpr_queue_ptr 0
		.amdhsa_user_sgpr_kernarg_segment_ptr 1
		.amdhsa_user_sgpr_dispatch_id 0
		.amdhsa_user_sgpr_private_segment_size 0
		.amdhsa_wavefront_size32 1
		.amdhsa_uses_dynamic_stack 0
		.amdhsa_enable_private_segment 1
		.amdhsa_system_sgpr_workgroup_id_x 1
		.amdhsa_system_sgpr_workgroup_id_y 1
		.amdhsa_system_sgpr_workgroup_id_z 1
		.amdhsa_system_sgpr_workgroup_info 0
		.amdhsa_system_vgpr_workitem_id 2
		.amdhsa_next_free_vgpr 192
		.amdhsa_next_free_sgpr 44
		.amdhsa_reserve_vcc 1
		.amdhsa_float_round_mode_32 0
		.amdhsa_float_round_mode_16_64 0
		.amdhsa_float_denorm_mode_32 3
		.amdhsa_float_denorm_mode_16_64 3
		.amdhsa_dx10_clamp 1
		.amdhsa_ieee_mode 1
		.amdhsa_fp16_overflow 0
		.amdhsa_workgroup_processor_mode 1
		.amdhsa_memory_ordered 1
		.amdhsa_forward_progress 0
		.amdhsa_shared_vgpr_count 0
		.amdhsa_exception_fp_ieee_invalid_op 0
		.amdhsa_exception_fp_denorm_src 0
		.amdhsa_exception_fp_ieee_div_zero 0
		.amdhsa_exception_fp_ieee_overflow 0
		.amdhsa_exception_fp_ieee_underflow 0
		.amdhsa_exception_fp_ieee_inexact 0
		.amdhsa_exception_int_div_zero 0
	.end_amdhsa_kernel
	.text
.Lfunc_end0:
	.size	_Z7kernel1iiiiiiiiiiiiddPKdS0_S0_S0_S0_PdS0_S0_S0_S0_S0_S0_S0_, .Lfunc_end0-_Z7kernel1iiiiiiiiiiiiddPKdS0_S0_S0_S0_PdS0_S0_S0_S0_S0_S0_S0_
                                        ; -- End function
	.section	.AMDGPU.csdata,"",@progbits
; Kernel info:
; codeLenInByte = 16208
; NumSgprs: 46
; NumVgprs: 192
; ScratchSize: 636
; MemoryBound: 0
; FloatMode: 240
; IeeeMode: 1
; LDSByteSize: 0 bytes/workgroup (compile time only)
; SGPRBlocks: 5
; VGPRBlocks: 23
; NumSGPRsForWavesPerEU: 46
; NumVGPRsForWavesPerEU: 192
; Occupancy: 8
; WaveLimiterHint : 0
; COMPUTE_PGM_RSRC2:SCRATCH_EN: 1
; COMPUTE_PGM_RSRC2:USER_SGPR: 13
; COMPUTE_PGM_RSRC2:TRAP_HANDLER: 0
; COMPUTE_PGM_RSRC2:TGID_X_EN: 1
; COMPUTE_PGM_RSRC2:TGID_Y_EN: 1
; COMPUTE_PGM_RSRC2:TGID_Z_EN: 1
; COMPUTE_PGM_RSRC2:TIDIG_COMP_CNT: 2
	.text
	.protected	_Z7kernel2iiiiiiiiiiiiddPKdS0_S0_S0_S0_PdS0_S0_S0_S0_S0_S0_S0_ ; -- Begin function _Z7kernel2iiiiiiiiiiiiddPKdS0_S0_S0_S0_PdS0_S0_S0_S0_S0_S0_S0_
	.globl	_Z7kernel2iiiiiiiiiiiiddPKdS0_S0_S0_S0_PdS0_S0_S0_S0_S0_S0_S0_
	.p2align	8
	.type	_Z7kernel2iiiiiiiiiiiiddPKdS0_S0_S0_S0_PdS0_S0_S0_S0_S0_S0_S0_,@function
_Z7kernel2iiiiiiiiiiiiddPKdS0_S0_S0_S0_PdS0_S0_S0_S0_S0_S0_S0_: ; @_Z7kernel2iiiiiiiiiiiiddPKdS0_S0_S0_S0_PdS0_S0_S0_S0_S0_S0_S0_
; %bb.0:
	s_clause 0x1
	s_load_b64 s[2:3], s[0:1], 0xb4
	s_load_b256 s[16:23], s[0:1], 0x0
	v_and_b32_e32 v1, 0x3ff, v0
	v_bfe_u32 v2, v0, 10, 10
	v_bfe_u32 v0, v0, 20, 10
	s_waitcnt lgkmcnt(0)
	s_and_b32 s4, s2, 0xffff
	s_lshr_b32 s2, s2, 16
	s_and_b32 s3, s3, 0xffff
	s_mul_i32 s13, s13, s4
	s_mul_i32 s14, s14, s2
	s_mul_i32 s15, s15, s3
	v_add3_u32 v181, s13, s16, v1
	v_add3_u32 v48, s14, s18, v2
	;; [unrolled: 1-line block ×3, first 2 shown]
	s_delay_alu instid0(VALU_DEP_3) | instskip(NEXT) | instid1(VALU_DEP_3)
	v_cmp_gt_i32_e32 vcc_lo, s17, v181
	v_cmp_gt_i32_e64 s2, s19, v48
	s_delay_alu instid0(VALU_DEP_3) | instskip(NEXT) | instid1(VALU_DEP_2)
	v_cmp_gt_i32_e64 s3, s21, v15
	s_and_b32 s2, vcc_lo, s2
	s_delay_alu instid0(VALU_DEP_1) | instid1(SALU_CYCLE_1)
	s_and_b32 s2, s2, s3
	s_delay_alu instid0(SALU_CYCLE_1)
	s_and_saveexec_b32 s3, s2
	s_cbranch_execz .LBB1_2
; %bb.1:
	s_load_b256 s[4:11], s[0:1], 0x20
	s_sub_i32 s2, s23, s22
	v_add_nc_u32_e32 v0, -2, v15
	s_add_i32 s3, s2, 1
	s_not_b32 s2, s2
	v_mul_lo_u32 v54, v48, s3
	s_load_b128 s[24:27], s[0:1], 0x98
	v_add_nc_u32_e32 v180, 1, v181
	s_waitcnt lgkmcnt(0)
	s_sub_i32 s5, s5, s4
	s_mul_i32 s2, s2, s4
	s_add_i32 s5, s5, 1
	s_delay_alu instid0(SALU_CYCLE_1) | instskip(NEXT) | instid1(SALU_CYCLE_1)
	s_mul_i32 s5, s5, s3
	s_mul_i32 s12, s5, s6
	v_mul_lo_u32 v3, v0, s5
	s_add_i32 s12, s12, s22
	v_mul_lo_u32 v182, v15, s5
	s_sub_i32 s21, s2, s12
	s_load_b256 s[12:19], s[0:1], 0x40
	s_delay_alu instid0(VALU_DEP_2) | instskip(SKIP_1) | instid1(VALU_DEP_2)
	v_dual_mov_b32 v12, v3 :: v_dual_add_nc_u32 v85, s21, v181
	v_add_nc_u32_e32 v2, s5, v3
	v_add_nc_u32_e32 v56, v54, v85
	s_delay_alu instid0(VALU_DEP_1) | instskip(NEXT) | instid1(VALU_DEP_1)
	v_add_nc_u32_e32 v0, v3, v56
	v_ashrrev_i32_e32 v1, 31, v0
	s_delay_alu instid0(VALU_DEP_1) | instskip(SKIP_1) | instid1(VALU_DEP_1)
	v_lshlrev_b64 v[0:1], 3, v[0:1]
	s_waitcnt lgkmcnt(0)
	v_add_co_u32 v4, vcc_lo, s14, v0
	v_add_co_u32 v6, s2, s16, v0
	v_add_nc_u32_e32 v0, v2, v56
	s_delay_alu instid0(VALU_DEP_4) | instskip(SKIP_1) | instid1(VALU_DEP_3)
	v_add_co_ci_u32_e32 v5, vcc_lo, s15, v1, vcc_lo
	v_add_co_ci_u32_e64 v7, vcc_lo, s17, v1, s2
	v_ashrrev_i32_e32 v1, 31, v0
	s_sub_i32 s2, s7, s6
	s_delay_alu instid0(SALU_CYCLE_1) | instskip(NEXT) | instid1(VALU_DEP_1)
	s_add_i32 s6, s2, 1
	v_lshlrev_b64 v[0:1], 3, v[0:1]
	s_mul_i32 s6, s6, s5
	s_delay_alu instid0(SALU_CYCLE_1) | instskip(SKIP_2) | instid1(VALU_DEP_2)
	s_sub_i32 s7, s21, s6
	s_lshl_b32 s20, s6, 1
	v_add_nc_u32_e32 v84, s7, v181
	v_add_co_u32 v8, vcc_lo, s14, v0
	v_add_co_ci_u32_e32 v9, vcc_lo, s15, v1, vcc_lo
	v_add_co_u32 v10, vcc_lo, s16, v0
	v_add_co_ci_u32_e32 v11, vcc_lo, s17, v1, vcc_lo
	v_lshl_add_u32 v1, s5, 1, v2
	v_add_nc_u32_e32 v57, v54, v84
	v_mov_b32_e32 v16, v2
	s_delay_alu instid0(VALU_DEP_3) | instskip(SKIP_1) | instid1(VALU_DEP_4)
	v_mov_b32_e32 v26, v1
	v_add_nc_u32_e32 v0, v1, v56
	v_add_nc_u32_e32 v49, v57, v182
	s_clause 0x1
	scratch_store_b32 off, v12, off offset:32
	scratch_store_b32 off, v16, off offset:68
	v_add_nc_u32_e32 v12, v12, v57
	v_ashrrev_i32_e32 v1, 31, v0
	v_add_nc_u32_e32 v15, v16, v57
	v_mov_b32_e32 v39, v26
	scratch_store_b32 off, v12, off offset:60 ; 4-byte Folded Spill
	v_add_nc_u32_e32 v12, s20, v12
	v_lshlrev_b64 v[2:3], 3, v[0:1]
	scratch_store_b32 off, v15, off offset:72 ; 4-byte Folded Spill
	v_add_nc_u32_e32 v21, s20, v15
	v_ashrrev_i32_e32 v13, 31, v12
	v_add_co_u32 v0, vcc_lo, s14, v2
	v_add_co_ci_u32_e32 v1, vcc_lo, s15, v3, vcc_lo
	s_delay_alu instid0(VALU_DEP_3) | instskip(SKIP_3) | instid1(VALU_DEP_4)
	v_lshlrev_b64 v[17:18], 3, v[12:13]
	v_add_co_u32 v2, vcc_lo, s16, v2
	v_add_co_ci_u32_e32 v3, vcc_lo, s17, v3, vcc_lo
	v_ashrrev_i32_e32 v22, 31, v21
	v_add_co_u32 v13, vcc_lo, s18, v17
	v_add_co_ci_u32_e32 v14, vcc_lo, s19, v18, vcc_lo
	global_load_b64 v[188:189], v[4:5], off
	global_load_b64 v[78:79], v[6:7], off
	;; [unrolled: 1-line block ×5, first 2 shown]
	v_add_co_u32 v124, vcc_lo, s12, v17
	v_add_co_ci_u32_e32 v125, vcc_lo, s13, v18, vcc_lo
	v_add_nc_u32_e32 v18, s20, v49
	v_add_nc_u32_e32 v4, v56, v182
	v_lshlrev_b64 v[22:23], 3, v[21:22]
	v_add_nc_u32_e32 v8, s6, v12
	v_add_nc_u32_e32 v10, s6, v21
	v_ashrrev_i32_e32 v19, 31, v18
	v_ashrrev_i32_e32 v5, 31, v4
	v_add_nc_u32_e32 v12, s6, v18
	v_ashrrev_i32_e32 v9, 31, v8
	v_ashrrev_i32_e32 v11, 31, v10
	v_lshlrev_b64 v[19:20], 3, v[18:19]
	v_lshlrev_b64 v[112:113], 3, v[4:5]
	v_ashrrev_i32_e32 v13, 31, v12
	s_delay_alu instid0(VALU_DEP_3) | instskip(NEXT) | instid1(VALU_DEP_4)
	v_add_co_u32 v170, vcc_lo, s18, v19
	v_add_co_ci_u32_e32 v171, vcc_lo, s19, v20, vcc_lo
	v_add_co_u32 v19, vcc_lo, s12, v19
	v_add_co_ci_u32_e32 v20, vcc_lo, s13, v20, vcc_lo
	;; [unrolled: 2-line block ×6, first 2 shown]
	global_load_b64 v[110:111], v[4:5], off
	global_load_b64 v[122:123], v[24:25], off
	;; [unrolled: 1-line block ×3, first 2 shown]
	v_add_nc_u32_e32 v4, v26, v57
	v_lshlrev_b64 v[21:22], 3, v[8:9]
	v_lshlrev_b64 v[23:24], 3, v[10:11]
	scratch_store_b32 off, v39, off offset:268 ; 4-byte Folded Spill
	v_lshlrev_b64 v[27:28], 3, v[12:13]
	v_add_nc_u32_e32 v6, s20, v4
	scratch_store_b32 off, v4, off offset:296 ; 4-byte Folded Spill
	v_add_nc_u32_e32 v8, s6, v8
	v_add_nc_u32_e32 v10, s6, v10
	v_ashrrev_i32_e32 v7, 31, v6
	v_add_nc_u32_e32 v14, s6, v6
	s_delay_alu instid0(VALU_DEP_4) | instskip(NEXT) | instid1(VALU_DEP_4)
	v_ashrrev_i32_e32 v9, 31, v8
	v_ashrrev_i32_e32 v11, 31, v10
	s_delay_alu instid0(VALU_DEP_4) | instskip(NEXT) | instid1(VALU_DEP_4)
	v_lshlrev_b64 v[4:5], 3, v[6:7]
	v_ashrrev_i32_e32 v15, 31, v14
	v_add_nc_u32_e32 v13, s6, v14
	v_lshlrev_b64 v[8:9], 3, v[8:9]
	v_lshlrev_b64 v[10:11], 3, v[10:11]
	v_add_co_u32 v6, vcc_lo, s18, v4
	v_add_co_ci_u32_e32 v7, vcc_lo, s19, v5, vcc_lo
	global_load_b64 v[126:127], v[0:1], off
	global_load_b64 v[94:95], v[2:3], off
	;; [unrolled: 1-line block ×3, first 2 shown]
	v_add_co_u32 v2, vcc_lo, s18, v21
	v_lshlrev_b64 v[0:1], 3, v[14:15]
	v_add_co_ci_u32_e32 v3, vcc_lo, s19, v22, vcc_lo
	v_add_co_u32 v6, vcc_lo, s18, v23
	v_add_co_ci_u32_e32 v7, vcc_lo, s19, v24, vcc_lo
	s_delay_alu instid0(VALU_DEP_4) | instskip(SKIP_4) | instid1(VALU_DEP_2)
	v_add_co_u32 v25, vcc_lo, s18, v0
	v_add_co_ci_u32_e32 v26, vcc_lo, s19, v1, vcc_lo
	v_add_co_u32 v31, vcc_lo, s18, v27
	v_add_co_ci_u32_e32 v32, vcc_lo, s19, v28, vcc_lo
	v_ashrrev_i32_e32 v14, 31, v13
	v_dual_mov_b32 v36, v32 :: v_dual_mov_b32 v35, v31
	s_delay_alu instid0(VALU_DEP_2)
	v_lshlrev_b64 v[13:14], 3, v[13:14]
	scratch_store_b64 off, v[35:36], off offset:368 ; 8-byte Folded Spill
	s_clause 0x4
	global_load_b64 v[42:43], v[2:3], off
	global_load_b64 v[64:65], v[6:7], off
	;; [unrolled: 1-line block ×3, first 2 shown]
	global_load_b128 v[72:75], v[170:171], off
	global_load_b128 v[88:91], v[35:36], off
	s_waitcnt vmcnt(14)
	v_add_f64 v[2:3], v[188:189], v[78:79]
	s_waitcnt vmcnt(12)
	s_delay_alu instid0(VALU_DEP_1)
	v_mul_f64 v[25:26], v[2:3], v[138:139]
	s_waitcnt vmcnt(11)
	v_add_f64 v[2:3], v[140:141], v[92:93]
	s_waitcnt vmcnt(6)
	scratch_store_b64 off, v[94:95], off offset:196 ; 8-byte Folded Spill
	v_mul_f64 v[29:30], v[2:3], v[122:123]
	v_add_f64 v[2:3], v[110:111], v[52:53]
	s_waitcnt vmcnt(3)
	s_delay_alu instid0(VALU_DEP_2) | instskip(SKIP_1) | instid1(VALU_DEP_2)
	v_mul_f64 v[136:137], v[29:30], v[64:65]
	s_waitcnt vmcnt(1)
	v_mul_f64 v[31:32], v[2:3], v[72:73]
	v_add_f64 v[2:3], v[126:127], v[94:95]
	s_waitcnt vmcnt(0)
	s_delay_alu instid0(VALU_DEP_2) | instskip(NEXT) | instid1(VALU_DEP_2)
	v_mul_f64 v[16:17], v[31:32], v[88:89]
	v_mul_f64 v[62:63], v[2:3], v[96:97]
	s_delay_alu instid0(VALU_DEP_2) | instskip(NEXT) | instid1(VALU_DEP_2)
	v_fma_f64 v[6:7], v[29:30], v[64:65], v[16:17]
	v_mul_f64 v[2:3], v[62:63], v[76:77]
	s_clause 0x2
	scratch_store_b64 off, v[78:79], off offset:180
	scratch_store_b64 off, v[92:93], off offset:164
	scratch_store_b64 off, v[2:3], off offset:8
	s_clause 0x2
	global_load_b64 v[114:115], v[19:20], off
	global_load_b128 v[142:145], v[130:131], off
	global_load_b128 v[116:119], v[124:125], off
	v_fma_f64 v[33:34], v[25:26], v[42:43], v[2:3]
	v_add_nc_u32_e32 v20, s6, v12
	v_add_co_u32 v2, vcc_lo, s12, v21
	v_add_co_ci_u32_e32 v3, vcc_lo, s13, v22, vcc_lo
	s_delay_alu instid0(VALU_DEP_3) | instskip(NEXT) | instid1(VALU_DEP_2)
	v_ashrrev_i32_e32 v21, 31, v20
	v_dual_mov_b32 v41, v3 :: v_dual_mov_b32 v40, v2
	s_delay_alu instid0(VALU_DEP_2) | instskip(SKIP_2) | instid1(VALU_DEP_1)
	v_lshlrev_b64 v[20:21], 3, v[20:21]
	v_fma_f64 v[6:7], 0x40080000, v[6:7], v[33:34]
	v_fma_f64 v[33:34], v[25:26], v[42:43], v[16:17]
	;; [unrolled: 1-line block ×3, first 2 shown]
	s_waitcnt vmcnt(1)
	v_add_f64 v[18:19], v[142:143], -v[114:115]
	s_waitcnt vmcnt(0)
	v_add_f64 v[35:36], v[116:117], -v[114:115]
	s_delay_alu instid0(VALU_DEP_2) | instskip(NEXT) | instid1(VALU_DEP_1)
	v_mul_f64 v[18:19], v[6:7], v[18:19]
	v_fma_f64 v[150:151], v[33:34], v[35:36], v[18:19]
	v_add_co_u32 v18, vcc_lo, s12, v27
	v_add_co_ci_u32_e32 v19, vcc_lo, s13, v28, vcc_lo
	v_add_co_u32 v8, vcc_lo, s18, v8
	v_add_co_ci_u32_e32 v9, vcc_lo, s19, v9, vcc_lo
	;; [unrolled: 2-line block ×6, first 2 shown]
	s_delay_alu instid0(VALU_DEP_3)
	v_dual_mov_b32 v28, v3 :: v_dual_mov_b32 v27, v2
	s_clause 0x1
	scratch_store_b64 off, v[40:41], off offset:328
	scratch_store_b64 off, v[27:28], off offset:320
	s_clause 0x3
	global_load_b64 v[33:34], v[8:9], off
	global_load_b64 v[70:71], v[10:11], off
	;; [unrolled: 1-line block ×3, first 2 shown]
	global_load_b128 v[35:38], v[2:3], off
	v_add_nc_u32_e32 v2, -2, v48
	s_delay_alu instid0(VALU_DEP_1) | instskip(NEXT) | instid1(VALU_DEP_1)
	v_mul_lo_u32 v187, v2, s3
	v_add_nc_u32_e32 v2, v187, v84
	v_add_nc_u32_e32 v185, s3, v187
	s_delay_alu instid0(VALU_DEP_1)
	v_lshl_add_u32 v186, s3, 1, v185
	s_waitcnt vmcnt(2)
	v_mul_f64 v[132:133], v[29:30], v[70:71]
	s_waitcnt vmcnt(1)
	v_mul_f64 v[156:157], v[62:63], v[174:175]
	;; [unrolled: 2-line block ×3, first 2 shown]
	s_delay_alu instid0(VALU_DEP_2) | instskip(NEXT) | instid1(VALU_DEP_2)
	v_fma_f64 v[10:11], v[25:26], v[33:34], v[156:157]
	v_fma_f64 v[8:9], v[29:30], v[70:71], v[128:129]
	s_delay_alu instid0(VALU_DEP_1)
	v_fma_f64 v[8:9], 0x40080000, v[8:9], v[10:11]
	s_clause 0x1
	global_load_b64 v[154:155], v[18:19], off
	global_load_b128 v[10:13], v[190:191], off
	scratch_store_b32 off, v2, off offset:260 ; 4-byte Folded Spill
	v_add_nc_u32_e32 v2, v2, v182
	s_clause 0x1
	scratch_store_b64 off, v[70:71], off offset:36
	scratch_store_b32 off, v2, off offset:92
	s_waitcnt vmcnt(0)
	scratch_store_b128 off, v[10:13], off offset:304 ; 16-byte Folded Spill
	global_load_b128 v[12:15], v[40:41], off
	v_add_f64 v[10:11], v[10:11], -v[154:155]
	s_delay_alu instid0(VALU_DEP_1) | instskip(SKIP_1) | instid1(VALU_DEP_1)
	v_mul_f64 v[8:9], v[8:9], v[10:11]
	v_fma_f64 v[10:11], v[25:26], v[33:34], v[128:129]
	v_fma_f64 v[10:11], 0xbfe80000, v[10:11], v[132:133]
	s_waitcnt vmcnt(0)
	scratch_store_b128 off, v[12:15], off offset:336 ; 16-byte Folded Spill
	v_add_f64 v[12:13], v[12:13], -v[154:155]
	v_add_nc_u32_e32 v14, s6, v2
	v_add_nc_u32_e32 v2, v185, v84
	s_delay_alu instid0(VALU_DEP_2)
	v_ashrrev_i32_e32 v15, 31, v14
	scratch_store_b32 off, v2, off offset:256 ; 4-byte Folded Spill
	v_add_nc_u32_e32 v2, v2, v182
	scratch_store_b64 off, v[33:34], off offset:44 ; 8-byte Folded Spill
	v_lshlrev_b64 v[14:15], 3, v[14:15]
	v_add_nc_u32_e32 v20, s6, v2
	s_delay_alu instid0(VALU_DEP_1) | instskip(NEXT) | instid1(VALU_DEP_1)
	v_ashrrev_i32_e32 v21, 31, v20
	v_lshlrev_b64 v[20:21], 3, v[20:21]
	v_fma_f64 v[142:143], v[10:11], v[12:13], v[8:9]
	v_subrev_nc_u32_e32 v8, s4, v48
	v_add3_u32 v10, v182, v185, v85
	v_add3_u32 v12, v182, v186, v85
	s_ashr_i32 s4, s7, 31
	s_delay_alu instid0(VALU_DEP_3) | instskip(NEXT) | instid1(VALU_DEP_3)
	v_ashrrev_i32_e32 v9, 31, v8
	v_ashrrev_i32_e32 v11, 31, v10
	s_delay_alu instid0(VALU_DEP_3) | instskip(NEXT) | instid1(VALU_DEP_3)
	v_ashrrev_i32_e32 v13, 31, v12
	v_lshlrev_b64 v[8:9], 3, v[8:9]
	s_delay_alu instid0(VALU_DEP_3) | instskip(NEXT) | instid1(VALU_DEP_3)
	v_lshlrev_b64 v[10:11], 3, v[10:11]
	v_lshlrev_b64 v[12:13], 3, v[12:13]
	s_delay_alu instid0(VALU_DEP_3) | instskip(SKIP_2) | instid1(VALU_DEP_2)
	v_add_co_u32 v134, vcc_lo, s26, v8
	v_add3_u32 v8, v182, v187, v85
	v_add_co_ci_u32_e32 v135, vcc_lo, s27, v9, vcc_lo
	v_ashrrev_i32_e32 v9, 31, v8
	s_delay_alu instid0(VALU_DEP_1) | instskip(NEXT) | instid1(VALU_DEP_1)
	v_lshlrev_b64 v[8:9], 3, v[8:9]
	v_add_co_u32 v8, vcc_lo, s14, v8
	s_delay_alu instid0(VALU_DEP_2)
	v_add_co_ci_u32_e32 v9, vcc_lo, s15, v9, vcc_lo
	v_add_co_u32 v10, vcc_lo, s14, v10
	v_add_co_ci_u32_e32 v11, vcc_lo, s15, v11, vcc_lo
	global_load_b64 v[26:27], v[8:9], off
	scratch_store_b32 off, v2, off offset:88 ; 4-byte Folded Spill
	v_add_co_u32 v12, vcc_lo, s14, v12
	v_add_co_ci_u32_e32 v13, vcc_lo, s15, v13, vcc_lo
	v_add_co_u32 v18, vcc_lo, s18, v14
	v_add_co_ci_u32_e32 v19, vcc_lo, s19, v15, vcc_lo
	;; [unrolled: 2-line block ×4, first 2 shown]
	v_add_nc_u32_e32 v2, v186, v84
	v_add_co_u32 v20, vcc_lo, s12, v20
	v_add_co_ci_u32_e32 v21, vcc_lo, s13, v21, vcc_lo
	s_waitcnt vmcnt(0)
	scratch_store_b64 off, v[26:27], off offset:120 ; 8-byte Folded Spill
	global_load_b64 v[24:25], v[18:19], off
	global_load_b64 v[18:19], v[10:11], off
	;; [unrolled: 1-line block ×3, first 2 shown]
	scratch_store_b32 off, v2, off offset:264 ; 4-byte Folded Spill
	v_add_nc_u32_e32 v2, v2, v182
	v_add_nc_u32_e32 v10, s6, v49
	global_load_b64 v[12:13], v[12:13], off
	global_load_b128 v[98:101], v[134:135], off
	v_add_nc_u32_e32 v8, s6, v2
	v_ashrrev_i32_e32 v11, 31, v10
	scratch_store_b32 off, v2, off offset:144 ; 4-byte Folded Spill
	v_ashrrev_i32_e32 v9, 31, v8
	v_lshlrev_b64 v[2:3], 3, v[10:11]
	s_delay_alu instid0(VALU_DEP_2)
	v_lshlrev_b64 v[164:165], 3, v[8:9]
	scratch_store_b64 off, v[2:3], off      ; 8-byte Folded Spill
	v_add_co_u32 v8, vcc_lo, s18, v164
	v_add_co_ci_u32_e32 v9, vcc_lo, s19, v165, vcc_lo
	v_add_co_u32 v152, vcc_lo, s18, v2
	v_add_co_ci_u32_e32 v153, vcc_lo, s19, v3, vcc_lo
	global_load_b64 v[10:11], v[8:9], off
	v_add_co_u32 v158, vcc_lo, s12, v2
	global_load_b128 v[80:83], v[152:153], off
	v_add_co_ci_u32_e32 v159, vcc_lo, s13, v3, vcc_lo
	v_add_nc_u32_e32 v2, -2, v181
	v_ashrrev_i32_e32 v3, 31, v54
	s_waitcnt vmcnt(6)
	v_mul_f64 v[8:9], v[26:27], v[24:25]
	s_waitcnt vmcnt(5)
	s_clause 0x1
	scratch_store_b64 off, v[18:19], off offset:104
	scratch_store_b64 off, v[24:25], off offset:112
	s_waitcnt vmcnt(4)
	scratch_store_b64 off, v[6:7], off offset:96 ; 8-byte Folded Spill
	v_mul_f64 v[183:184], v[24:25], v[8:9]
	global_load_b128 v[22:25], v[134:135], off offset:-16
	v_mul_f64 v[8:9], v[18:19], v[6:7]
	s_delay_alu instid0(VALU_DEP_1)
	v_mul_f64 v[18:19], v[6:7], v[8:9]
	s_waitcnt vmcnt(2)
	v_dual_mov_b32 v6, v10 :: v_dual_mov_b32 v7, v11
	s_waitcnt vmcnt(1)
	v_mul_f64 v[8:9], v[110:111], v[80:81]
	scratch_store_b64 off, v[12:13], off offset:156 ; 8-byte Folded Spill
	v_mul_f64 v[10:11], v[12:13], v[6:7]
	s_clause 0x1
	scratch_store_b64 off, v[6:7], off offset:148
	scratch_store_b64 off, v[18:19], off offset:384
	v_mul_f64 v[8:9], v[80:81], v[8:9]
	v_mul_f64 v[102:103], v[6:7], v[10:11]
	v_add3_u32 v7, v182, v54, s21
	v_ashrrev_i32_e32 v6, 31, v181
	s_delay_alu instid0(VALU_DEP_4) | instskip(NEXT) | instid1(VALU_DEP_4)
	v_mul_f64 v[162:163], v[98:99], v[8:9]
	v_mul_f64 v[178:179], v[100:101], v[102:103]
	s_waitcnt vmcnt(0)
	scratch_store_b128 off, v[22:25], off offset:128 ; 16-byte Folded Spill
	v_fma_f64 v[8:9], v[22:23], v[183:184], v[178:179]
	v_fma_f64 v[10:11], v[24:25], v[18:19], v[162:163]
	v_mul_f64 v[18:19], v[24:25], v[18:19]
	v_fma_f64 v[12:13], v[22:23], v[183:184], v[162:163]
	v_add_nc_u32_e32 v24, v7, v180
	s_delay_alu instid0(VALU_DEP_1) | instskip(NEXT) | instid1(VALU_DEP_1)
	v_ashrrev_i32_e32 v25, 31, v24
	v_lshlrev_b64 v[24:25], 3, v[24:25]
	v_fma_f64 v[8:9], 0x40080000, v[10:11], v[8:9]
	s_clause 0x1
	global_load_b64 v[10:11], v[20:21], off
	global_load_b128 v[48:51], v[158:159], off
	v_fma_f64 v[12:13], 0xbfe80000, v[12:13], v[18:19]
	scratch_store_b32 off, v2, off offset:396 ; 4-byte Folded Spill
	s_waitcnt vmcnt(0)
	v_add_f64 v[10:11], v[10:11], -v[48:49]
	s_delay_alu instid0(VALU_DEP_1) | instskip(SKIP_3) | instid1(VALU_DEP_1)
	v_mul_f64 v[8:9], v[8:9], v[10:11]
	global_load_b64 v[10:11], v[14:15], off
	s_waitcnt vmcnt(0)
	v_add_f64 v[10:11], v[10:11], -v[48:49]
	v_fma_f64 v[20:21], v[12:13], v[10:11], v[8:9]
	v_subrev_nc_u32_e32 v8, s22, v181
	s_delay_alu instid0(VALU_DEP_1) | instskip(NEXT) | instid1(VALU_DEP_1)
	v_ashrrev_i32_e32 v9, 31, v8
	v_lshlrev_b64 v[8:9], 3, v[8:9]
	s_delay_alu instid0(VALU_DEP_1) | instskip(SKIP_2) | instid1(VALU_DEP_4)
	v_add_co_u32 v22, vcc_lo, s24, v8
	v_add_nc_u32_e32 v8, v7, v2
	v_add_nc_u32_e32 v2, -1, v181
	v_add_co_ci_u32_e32 v23, vcc_lo, s25, v9, vcc_lo
	s_delay_alu instid0(VALU_DEP_3) | instskip(NEXT) | instid1(VALU_DEP_3)
	v_ashrrev_i32_e32 v9, 31, v8
	v_add_nc_u32_e32 v12, v7, v2
	scratch_store_b32 off, v2, off offset:392 ; 4-byte Folded Spill
	v_lshlrev_b64 v[8:9], 3, v[8:9]
	v_ashrrev_i32_e32 v13, 31, v12
	s_delay_alu instid0(VALU_DEP_2) | instskip(NEXT) | instid1(VALU_DEP_2)
	v_add_co_u32 v10, vcc_lo, s14, v8
	v_lshlrev_b64 v[12:13], 3, v[12:13]
	s_delay_alu instid0(VALU_DEP_4) | instskip(SKIP_2) | instid1(VALU_DEP_4)
	v_add_co_ci_u32_e32 v11, vcc_lo, s15, v9, vcc_lo
	v_add_co_u32 v8, vcc_lo, s16, v8
	v_add_co_ci_u32_e32 v9, vcc_lo, s17, v9, vcc_lo
	v_add_co_u32 v14, vcc_lo, s14, v12
	;; [unrolled: 2-line block ×3, first 2 shown]
	v_add_co_ci_u32_e32 v13, vcc_lo, s17, v13, vcc_lo
	global_load_b64 v[10:11], v[10:11], off
	global_load_b64 v[104:105], v[8:9], off
	global_load_b64 v[8:9], v[14:15], off
	global_load_b64 v[116:117], v[12:13], off
	global_load_b128 v[12:15], v[170:171], off offset:-16
	v_add_co_u32 v26, vcc_lo, s14, v24
	v_add_co_ci_u32_e32 v27, vcc_lo, s15, v25, vcc_lo
	v_add_co_u32 v24, vcc_lo, s16, v24
	v_add_co_ci_u32_e32 v25, vcc_lo, s17, v25, vcc_lo
	;; [unrolled: 2-line block ×3, first 2 shown]
	s_delay_alu instid0(VALU_DEP_2) | instskip(NEXT) | instid1(VALU_DEP_1)
	v_add_co_u32 v2, s2, v2, v54
	v_add_co_ci_u32_e64 v3, vcc_lo, v6, v3, s2
	v_ashrrev_i32_e32 v6, 31, v182
	s_delay_alu instid0(VALU_DEP_3) | instskip(SKIP_1) | instid1(VALU_DEP_2)
	v_add_co_u32 v2, vcc_lo, v2, v182
	s_ashr_i32 s2, s6, 31
	v_add_co_ci_u32_e32 v3, vcc_lo, v3, v6, vcc_lo
	s_delay_alu instid0(VALU_DEP_2) | instskip(SKIP_1) | instid1(VALU_DEP_3)
	v_add_co_u32 v28, vcc_lo, v2, s6
	v_add_nc_u32_e32 v2, s5, v39
	v_add_co_ci_u32_e32 v29, vcc_lo, s2, v3, vcc_lo
	s_mov_b32 s5, 0x3fe55555
	s_delay_alu instid0(VALU_DEP_2) | instskip(NEXT) | instid1(VALU_DEP_2)
	v_mov_b32_e32 v6, v2
	v_lshlrev_b64 v[28:29], 3, v[28:29]
	s_delay_alu instid0(VALU_DEP_1) | instskip(NEXT) | instid1(VALU_DEP_2)
	v_add_co_u32 v28, vcc_lo, s18, v28
	v_add_co_ci_u32_e32 v29, vcc_lo, s19, v29, vcc_lo
	s_waitcnt vmcnt(3)
	v_fma_f64 v[10:11], v[10:11], 2.0, v[104:105]
	s_waitcnt vmcnt(1)
	v_fma_f64 v[8:9], v[8:9], 2.0, v[116:117]
	s_waitcnt vmcnt(0)
	s_delay_alu instid0(VALU_DEP_2)
	v_mul_f64 v[148:149], v[10:11], v[12:13]
	global_load_b64 v[12:13], v[26:27], off
	global_load_b64 v[146:147], v[24:25], off
	global_load_b128 v[66:69], v[28:29], off offset:-16
	global_load_b128 v[106:109], v[158:159], off offset:-16
	v_mul_f64 v[160:161], v[8:9], v[14:15]
	global_load_b128 v[166:169], v[22:23], off offset:-16
	s_waitcnt vmcnt(3)
	v_fma_f64 v[120:121], v[12:13], 2.0, v[146:147]
	v_fma_f64 v[12:13], v[110:111], 2.0, v[52:53]
	global_load_b128 v[52:55], v[22:23], off
	s_waitcnt vmcnt(3)
	v_mul_f64 v[8:9], v[8:9], v[68:69]
	v_mul_f64 v[10:11], v[10:11], v[66:67]
	s_waitcnt vmcnt(2)
	v_add_f64 v[58:59], v[106:107], -v[48:49]
	s_delay_alu instid0(VALU_DEP_3) | instskip(SKIP_1) | instid1(VALU_DEP_4)
	v_mul_f64 v[24:25], v[68:69], v[8:9]
	v_mul_f64 v[8:9], v[120:121], v[82:83]
	v_mul_f64 v[14:15], v[66:67], v[10:11]
	s_delay_alu instid0(VALU_DEP_2) | instskip(SKIP_2) | instid1(VALU_DEP_2)
	v_mul_f64 v[26:27], v[82:83], v[8:9]
	v_mul_f64 v[8:9], v[12:13], v[80:81]
	;; [unrolled: 1-line block ×4, first 2 shown]
	s_waitcnt vmcnt(0)
	s_delay_alu instid0(VALU_DEP_1) | instskip(SKIP_1) | instid1(VALU_DEP_4)
	v_mul_f64 v[28:29], v[52:53], v[8:9]
	v_mul_f64 v[30:31], v[54:55], v[26:27]
	;; [unrolled: 1-line block ×3, first 2 shown]
	s_delay_alu instid0(VALU_DEP_3) | instskip(NEXT) | instid1(VALU_DEP_3)
	v_fma_f64 v[46:47], v[168:169], v[24:25], v[28:29]
	v_fma_f64 v[40:41], v[166:167], v[14:15], v[30:31]
	v_mul_f64 v[24:25], v[168:169], v[24:25]
	v_fma_f64 v[14:15], v[166:167], v[14:15], v[28:29]
	v_mul_f64 v[12:13], v[72:73], v[12:13]
	s_delay_alu instid0(VALU_DEP_4) | instskip(SKIP_1) | instid1(VALU_DEP_4)
	v_fma_f64 v[40:41], 0x40080000, v[46:47], v[40:41]
	v_add_f64 v[46:47], v[108:109], -v[48:49]
	v_fma_f64 v[14:15], 0xbfe80000, v[14:15], v[24:25]
	s_delay_alu instid0(VALU_DEP_2) | instskip(NEXT) | instid1(VALU_DEP_1)
	v_mul_f64 v[40:41], v[40:41], v[46:47]
	v_fma_f64 v[176:177], v[14:15], v[58:59], v[40:41]
	v_add_nc_u32_e32 v40, v2, v56
	s_delay_alu instid0(VALU_DEP_1) | instskip(NEXT) | instid1(VALU_DEP_1)
	v_ashrrev_i32_e32 v41, 31, v40
	v_lshlrev_b64 v[40:41], 3, v[40:41]
	s_delay_alu instid0(VALU_DEP_1) | instskip(NEXT) | instid1(VALU_DEP_2)
	v_add_co_u32 v46, vcc_lo, s14, v40
	v_add_co_ci_u32_e32 v47, vcc_lo, s15, v41, vcc_lo
	v_add_co_u32 v58, vcc_lo, s16, v40
	v_add_co_ci_u32_e32 v59, vcc_lo, s17, v41, vcc_lo
	v_add_nc_u32_e32 v41, s3, v186
	scratch_store_b32 off, v6, off offset:288 ; 4-byte Folded Spill
	global_load_b64 v[10:11], v[46:47], off
	global_load_b64 v[14:15], v[58:59], off
	v_add_nc_u32_e32 v32, v6, v57
	v_add_co_u32 v172, vcc_lo, s12, v4
	v_add_co_ci_u32_e32 v173, vcc_lo, s13, v5, vcc_lo
	s_delay_alu instid0(VALU_DEP_3)
	v_add_nc_u32_e32 v4, s20, v32
	v_fma_f64 v[58:59], v[62:63], v[76:77], v[16:17]
	v_fma_f64 v[62:63], v[62:63], v[174:175], v[128:129]
	global_load_b64 v[39:40], v[134:135], off offset:16
	s_load_b128 s[0:3], s[0:1], 0x60
	v_ashrrev_i32_e32 v5, 31, v4
	scratch_store_b64 off, v[174:175], off offset:52 ; 8-byte Folded Spill
	v_lshlrev_b64 v[46:47], 3, v[4:5]
	v_add_nc_u32_e32 v4, s6, v4
	s_delay_alu instid0(VALU_DEP_2) | instskip(NEXT) | instid1(VALU_DEP_3)
	v_add_co_u32 v56, vcc_lo, s18, v46
	v_add_co_ci_u32_e32 v57, vcc_lo, s19, v47, vcc_lo
	s_delay_alu instid0(VALU_DEP_3) | instskip(SKIP_2) | instid1(VALU_DEP_1)
	v_ashrrev_i32_e32 v5, 31, v4
	global_load_b64 v[80:81], v[56:57], off
	v_lshlrev_b64 v[44:45], 3, v[4:5]
	v_add_co_u32 v56, vcc_lo, s18, v44
	s_delay_alu instid0(VALU_DEP_2)
	v_add_co_ci_u32_e32 v57, vcc_lo, s19, v45, vcc_lo
	global_load_b64 v[86:87], v[56:57], off
	s_waitcnt vmcnt(3)
	v_add_f64 v[56:57], v[10:11], v[14:15]
	s_waitcnt vmcnt(2)
	scratch_store_b64 off, v[39:40], off offset:232 ; 8-byte Folded Spill
	s_waitcnt vmcnt(1)
	v_mul_f64 v[5:6], v[56:57], v[80:81]
	s_waitcnt vmcnt(0)
	s_delay_alu instid0(VALU_DEP_1) | instskip(SKIP_1) | instid1(VALU_DEP_2)
	v_fma_f64 v[56:57], v[5:6], v[86:87], v[136:137]
	v_fma_f64 v[16:17], v[5:6], v[86:87], v[16:17]
	v_fma_f64 v[106:107], 0x40080000, v[58:59], v[56:57]
	global_load_b128 v[56:59], v[172:173], off
	s_waitcnt vmcnt(0)
	v_add_f64 v[56:57], v[56:57], -v[114:115]
	s_delay_alu instid0(VALU_DEP_1) | instskip(SKIP_1) | instid1(VALU_DEP_1)
	v_fma_f64 v[136:137], v[106:107], v[56:57], v[150:151]
	v_add_nc_u32_e32 v56, s6, v4
	v_ashrrev_i32_e32 v57, 31, v56
	s_delay_alu instid0(VALU_DEP_1) | instskip(NEXT) | instid1(VALU_DEP_1)
	v_lshlrev_b64 v[56:57], 3, v[56:57]
	v_add_co_u32 v56, vcc_lo, s18, v56
	s_delay_alu instid0(VALU_DEP_2)
	v_add_co_ci_u32_e32 v57, vcc_lo, s19, v57, vcc_lo
	v_add_co_u32 v150, vcc_lo, s12, v0
	v_add_co_ci_u32_e32 v151, vcc_lo, s13, v1, vcc_lo
	global_load_b64 v[2:3], v[56:57], off
	global_load_b128 v[106:109], v[150:151], off
	s_waitcnt vmcnt(1)
	v_fma_f64 v[0:1], v[5:6], v[2:3], v[132:133]
	v_dual_mov_b32 v9, v3 :: v_dual_mov_b32 v8, v2
	s_waitcnt vmcnt(0)
	scratch_store_b128 off, v[106:109], off offset:352 ; 16-byte Folded Spill
	v_fma_f64 v[4:5], v[5:6], v[8:9], v[128:129]
	v_fma_f64 v[0:1], 0x40080000, v[62:63], v[0:1]
	v_add_f64 v[62:63], v[106:107], -v[154:155]
	s_delay_alu instid0(VALU_DEP_3) | instskip(SKIP_1) | instid1(VALU_DEP_3)
	v_fma_f64 v[4:5], 0xbfe80000, v[4:5], v[156:157]
	v_dual_mov_b32 v157, v38 :: v_dual_mov_b32 v156, v37
	v_fma_f64 v[2:3], v[0:1], v[62:63], v[142:143]
	v_add3_u32 v62, v182, v41, v85
	v_add_nc_u32_e32 v0, v41, v84
	s_delay_alu instid0(VALU_DEP_2) | instskip(SKIP_3) | instid1(VALU_DEP_2)
	v_ashrrev_i32_e32 v63, 31, v62
	scratch_store_b32 off, v0, off offset:292 ; 4-byte Folded Spill
	v_add_nc_u32_e32 v0, v0, v182
	v_lshlrev_b64 v[62:63], 3, v[62:63]
	v_add_nc_u32_e32 v132, s6, v0
	s_delay_alu instid0(VALU_DEP_2) | instskip(NEXT) | instid1(VALU_DEP_3)
	v_add_co_u32 v62, vcc_lo, s14, v62
	v_add_co_ci_u32_e32 v63, vcc_lo, s15, v63, vcc_lo
	s_delay_alu instid0(VALU_DEP_3)
	v_ashrrev_i32_e32 v133, 31, v132
	v_add_co_u32 v106, vcc_lo, s12, v164
	global_load_b64 v[56:57], v[62:63], off
	s_clause 0x1
	scratch_store_b64 off, v[14:15], off offset:212
	scratch_store_b32 off, v0, off offset:228
	v_lshlrev_b64 v[0:1], 3, v[132:133]
	v_add_co_ci_u32_e32 v107, vcc_lo, s13, v165, vcc_lo
	s_delay_alu instid0(VALU_DEP_2) | instskip(NEXT) | instid1(VALU_DEP_3)
	v_add_co_u32 v132, vcc_lo, s18, v0
	v_add_co_ci_u32_e32 v133, vcc_lo, s19, v1, vcc_lo
	global_load_b64 v[84:85], v[132:133], off
	s_waitcnt vmcnt(1)
	scratch_store_b64 off, v[56:57], off offset:220 ; 8-byte Folded Spill
	s_waitcnt vmcnt(0)
	v_mul_f64 v[62:63], v[56:57], v[84:85]
	scratch_store_b64 off, v[84:85], off offset:376 ; 8-byte Folded Spill
	v_add_nc_u32_e32 v56, 2, v181
	v_mul_f64 v[84:85], v[84:85], v[62:63]
	v_fma_f64 v[62:63], v[100:101], v[102:103], v[162:163]
	s_delay_alu instid0(VALU_DEP_2) | instskip(NEXT) | instid1(VALU_DEP_1)
	v_fma_f64 v[18:19], v[39:40], v[84:85], v[18:19]
	v_fma_f64 v[18:19], 0x40080000, v[62:63], v[18:19]
	global_load_b64 v[62:63], v[106:107], off
	s_waitcnt vmcnt(0)
	v_add_f64 v[62:63], v[62:63], -v[48:49]
	s_delay_alu instid0(VALU_DEP_1) | instskip(SKIP_1) | instid1(VALU_DEP_1)
	v_fma_f64 v[18:19], v[18:19], v[62:63], v[20:21]
	v_add_nc_u32_e32 v20, v7, v56
	v_ashrrev_i32_e32 v21, 31, v20
	s_delay_alu instid0(VALU_DEP_1) | instskip(NEXT) | instid1(VALU_DEP_1)
	v_lshlrev_b64 v[20:21], 3, v[20:21]
	v_add_co_u32 v62, vcc_lo, s14, v20
	s_delay_alu instid0(VALU_DEP_2)
	v_add_co_ci_u32_e32 v63, vcc_lo, s15, v21, vcc_lo
	v_add_co_u32 v20, vcc_lo, s16, v20
	v_add_co_ci_u32_e32 v21, vcc_lo, s17, v21, vcc_lo
	global_load_b64 v[62:63], v[62:63], off
	global_load_b64 v[108:109], v[20:21], off
	global_load_b64 v[164:165], v[152:153], off offset:16
	global_load_b64 v[132:133], v[22:23], off offset:16
	s_clause 0x5
	scratch_store_b64 off, v[188:189], off offset:248
	scratch_store_b64 off, v[64:65], off offset:272
	;; [unrolled: 1-line block ×6, first 2 shown]
	s_waitcnt vmcnt(2)
	v_fma_f64 v[142:143], v[62:63], 2.0, v[108:109]
	s_waitcnt vmcnt(1)
	s_delay_alu instid0(VALU_DEP_1) | instskip(NEXT) | instid1(VALU_DEP_1)
	v_mul_f64 v[20:21], v[142:143], v[164:165]
	v_mul_f64 v[20:21], v[164:165], v[20:21]
	s_waitcnt vmcnt(0)
	s_delay_alu instid0(VALU_DEP_1) | instskip(SKIP_1) | instid1(VALU_DEP_1)
	v_fma_f64 v[22:23], v[132:133], v[20:21], v[24:25]
	v_fma_f64 v[24:25], v[54:55], v[26:27], v[28:29]
	;; [unrolled: 1-line block ×3, first 2 shown]
	v_add_f64 v[24:25], v[50:51], -v[48:49]
	s_delay_alu instid0(VALU_DEP_1)
	v_fma_f64 v[26:27], v[22:23], v[24:25], v[176:177]
	v_add_co_u32 v176, vcc_lo, s12, v46
	v_add_co_ci_u32_e32 v177, vcc_lo, s13, v47, vcc_lo
	scratch_load_b64 v[22:23], off, off offset:8 ; 8-byte Folded Reload
	v_add_co_u32 v106, vcc_lo, s12, v44
	global_load_b128 v[60:63], v[176:177], off
	v_add_co_ci_u32_e32 v107, vcc_lo, s13, v45, vcc_lo
	v_add_co_u32 v0, vcc_lo, s12, v0
	v_add_co_ci_u32_e32 v1, vcc_lo, s13, v1, vcc_lo
	v_dual_mov_b32 v47, v9 :: v_dual_mov_b32 v46, v8
	global_load_b64 v[0:1], v[0:1], off
	s_waitcnt vmcnt(2)
	v_fma_f64 v[16:17], 0xbfe80000, v[16:17], v[22:23]
	s_waitcnt vmcnt(1)
	v_add_f64 v[22:23], v[60:61], -v[114:115]
	s_waitcnt vmcnt(0)
	v_add_f64 v[0:1], v[0:1], -v[48:49]
	s_delay_alu instid0(VALU_DEP_2) | instskip(SKIP_3) | instid1(VALU_DEP_1)
	v_fma_f64 v[16:17], v[16:17], v[22:23], v[136:137]
	global_load_b128 v[134:137], v[106:107], off
	s_waitcnt vmcnt(0)
	v_add_f64 v[6:7], v[134:135], -v[154:155]
	v_fma_f64 v[2:3], v[4:5], v[6:7], v[2:3]
	v_fma_f64 v[4:5], v[39:40], v[84:85], v[162:163]
	s_delay_alu instid0(VALU_DEP_1) | instskip(NEXT) | instid1(VALU_DEP_1)
	v_fma_f64 v[4:5], 0xbfe80000, v[4:5], v[178:179]
	v_fma_f64 v[8:9], v[4:5], v[0:1], v[18:19]
	s_waitcnt lgkmcnt(0)
	v_add_co_u32 v4, vcc_lo, s0, v112
	v_add_co_ci_u32_e32 v5, vcc_lo, s1, v113, vcc_lo
	v_mul_f64 v[0:1], v[52:53], v[98:99]
	s_mov_b32 s1, 0x3fc55555
	s_mov_b32 s0, 0x55555555
	global_load_b64 v[22:23], v[4:5], off
	s_mov_b32 s4, s0
	v_mul_f64 v[8:9], v[8:9], s[0:1]
	scratch_store_b64 off, v[0:1], off offset:8 ; 8-byte Folded Spill
	s_waitcnt vmcnt(0)
	v_div_scale_f64 v[4:5], null, v[22:23], v[22:23], v[0:1]
	scratch_store_b64 off, v[22:23], off offset:24 ; 8-byte Folded Spill
	v_rcp_f64_e32 v[6:7], v[4:5]
	s_waitcnt_depctr 0xfff
	v_fma_f64 v[18:19], -v[4:5], v[6:7], 1.0
	s_delay_alu instid0(VALU_DEP_1) | instskip(NEXT) | instid1(VALU_DEP_1)
	v_fma_f64 v[6:7], v[6:7], v[18:19], v[6:7]
	v_fma_f64 v[18:19], -v[4:5], v[6:7], 1.0
	s_delay_alu instid0(VALU_DEP_1) | instskip(SKIP_1) | instid1(VALU_DEP_1)
	v_fma_f64 v[6:7], v[6:7], v[18:19], v[6:7]
	v_div_scale_f64 v[18:19], vcc_lo, v[0:1], v[22:23], v[0:1]
	v_mul_f64 v[22:23], v[18:19], v[6:7]
	s_delay_alu instid0(VALU_DEP_1) | instskip(NEXT) | instid1(VALU_DEP_1)
	v_fma_f64 v[4:5], -v[4:5], v[22:23], v[18:19]
	v_div_fmas_f64 v[0:1], v[4:5], v[6:7], v[22:23]
	v_div_scale_f64 v[4:5], null, v[98:99], v[98:99], 1.0
	s_clause 0x2
	scratch_store_b64 off, v[46:47], off offset:80
	scratch_store_b64 off, v[42:43], off offset:240
	;; [unrolled: 1-line block ×3, first 2 shown]
	v_rcp_f64_e32 v[6:7], v[4:5]
	s_waitcnt_depctr 0xfff
	v_fma_f64 v[18:19], -v[4:5], v[6:7], 1.0
	s_delay_alu instid0(VALU_DEP_1) | instskip(NEXT) | instid1(VALU_DEP_1)
	v_fma_f64 v[6:7], v[6:7], v[18:19], v[6:7]
	v_fma_f64 v[18:19], -v[4:5], v[6:7], 1.0
	s_delay_alu instid0(VALU_DEP_1) | instskip(SKIP_1) | instid1(VALU_DEP_1)
	v_fma_f64 v[6:7], v[6:7], v[18:19], v[6:7]
	v_div_scale_f64 v[18:19], vcc_lo, 1.0, v[98:99], 1.0
	v_mul_f64 v[22:23], v[18:19], v[6:7]
	s_delay_alu instid0(VALU_DEP_1) | instskip(NEXT) | instid1(VALU_DEP_1)
	v_fma_f64 v[4:5], -v[4:5], v[22:23], v[18:19]
	v_div_fmas_f64 v[4:5], v[4:5], v[6:7], v[22:23]
	v_div_scale_f64 v[6:7], null, v[52:53], v[52:53], 1.0
	s_delay_alu instid0(VALU_DEP_1) | instskip(SKIP_2) | instid1(VALU_DEP_1)
	v_rcp_f64_e32 v[18:19], v[6:7]
	s_waitcnt_depctr 0xfff
	v_fma_f64 v[22:23], -v[6:7], v[18:19], 1.0
	v_fma_f64 v[18:19], v[18:19], v[22:23], v[18:19]
	s_delay_alu instid0(VALU_DEP_1) | instskip(NEXT) | instid1(VALU_DEP_1)
	v_fma_f64 v[22:23], -v[6:7], v[18:19], 1.0
	v_fma_f64 v[18:19], v[18:19], v[22:23], v[18:19]
	v_div_scale_f64 v[22:23], vcc_lo, 1.0, v[52:53], 1.0
	s_delay_alu instid0(VALU_DEP_1) | instskip(NEXT) | instid1(VALU_DEP_1)
	v_mul_f64 v[24:25], v[22:23], v[18:19]
	v_fma_f64 v[6:7], -v[6:7], v[24:25], v[22:23]
	v_fma_f64 v[22:23], v[188:189], 2.0, v[78:79]
	s_delay_alu instid0(VALU_DEP_2) | instskip(SKIP_4) | instid1(VALU_DEP_2)
	v_div_fmas_f64 v[6:7], v[6:7], v[18:19], v[24:25]
	v_fma_f64 v[18:19], v[132:133], v[20:21], v[28:29]
	global_load_b64 v[20:21], v[158:159], off offset:16
	v_mul_f64 v[162:163], v[22:23], v[138:139]
	v_fma_f64 v[18:19], 0xbfe80000, v[18:19], v[30:31]
	v_mul_f64 v[22:23], v[52:53], v[162:163]
	s_delay_alu instid0(VALU_DEP_1) | instskip(SKIP_3) | instid1(VALU_DEP_1)
	v_mul_f64 v[22:23], v[138:139], v[22:23]
	scratch_load_b64 v[138:139], off, off offset:368 ; 8-byte Folded Reload
	s_waitcnt vmcnt(1)
	v_add_f64 v[20:21], v[20:21], -v[48:49]
	v_fma_f64 v[0:1], v[18:19], v[20:21], v[26:27]
	v_mul_f64 v[20:21], v[98:99], v[42:43]
	v_mul_f64 v[18:19], v[98:99], v[88:89]
	v_fma_f64 v[26:27], v[126:127], 2.0, v[94:95]
	s_delay_alu instid0(VALU_DEP_3) | instskip(NEXT) | instid1(VALU_DEP_3)
	v_mul_f64 v[20:21], v[42:43], v[20:21]
	v_mul_f64 v[18:19], v[88:89], v[18:19]
	v_dual_mov_b32 v88, v140 :: v_dual_mov_b32 v89, v141
	v_dual_mov_b32 v42, v86 :: v_dual_mov_b32 v43, v87
	s_waitcnt vmcnt(0)
	global_load_b128 v[152:155], v[138:139], off offset:-16
	v_fma_f64 v[24:25], v[88:89], 2.0, v[92:93]
	v_dual_mov_b32 v93, v77 :: v_dual_mov_b32 v92, v76
	v_mul_f64 v[20:21], v[98:99], v[20:21]
	v_mul_f64 v[18:19], v[98:99], v[18:19]
	s_delay_alu instid0(VALU_DEP_4) | instskip(NEXT) | instid1(VALU_DEP_3)
	v_mul_f64 v[178:179], v[24:25], v[122:123]
	v_fma_f64 v[20:21], v[33:34], v[33:34], v[20:21]
	s_delay_alu instid0(VALU_DEP_3) | instskip(NEXT) | instid1(VALU_DEP_3)
	v_fma_f64 v[18:19], v[35:36], v[35:36], v[18:19]
	v_mul_f64 v[24:25], v[52:53], v[178:179]
	s_delay_alu instid0(VALU_DEP_3) | instskip(NEXT) | instid1(VALU_DEP_3)
	v_mul_f64 v[20:21], v[188:189], v[20:21]
	v_mul_f64 v[18:19], v[110:111], v[18:19]
	s_delay_alu instid0(VALU_DEP_3) | instskip(NEXT) | instid1(VALU_DEP_3)
	v_mul_f64 v[24:25], v[122:123], v[24:25]
	v_fma_f64 v[20:21], v[52:53], v[22:23], v[20:21]
	v_mul_f64 v[22:23], v[98:99], v[64:65]
	s_delay_alu instid0(VALU_DEP_4) | instskip(NEXT) | instid1(VALU_DEP_2)
	v_fma_f64 v[12:13], v[52:53], v[12:13], v[18:19]
	v_mul_f64 v[22:23], v[64:65], v[22:23]
	v_mul_f64 v[64:65], v[26:27], v[96:97]
	s_delay_alu instid0(VALU_DEP_2) | instskip(NEXT) | instid1(VALU_DEP_2)
	v_mul_f64 v[22:23], v[98:99], v[22:23]
	v_mul_f64 v[26:27], v[52:53], v[64:65]
	s_delay_alu instid0(VALU_DEP_2) | instskip(NEXT) | instid1(VALU_DEP_2)
	v_fma_f64 v[22:23], v[70:71], v[70:71], v[22:23]
	v_mul_f64 v[26:27], v[96:97], v[26:27]
	v_dual_mov_b32 v96, v126 :: v_dual_mov_b32 v97, v127
	v_dual_mov_b32 v71, v11 :: v_dual_mov_b32 v70, v10
	s_delay_alu instid0(VALU_DEP_4) | instskip(NEXT) | instid1(VALU_DEP_1)
	v_mul_f64 v[22:23], v[88:89], v[22:23]
	v_fma_f64 v[22:23], v[52:53], v[24:25], v[22:23]
	v_mul_f64 v[24:25], v[98:99], v[76:77]
	s_delay_alu instid0(VALU_DEP_1) | instskip(SKIP_1) | instid1(VALU_DEP_2)
	v_mul_f64 v[24:25], v[76:77], v[24:25]
	v_mul_f64 v[76:77], v[66:67], v[148:149]
	;; [unrolled: 1-line block ×3, first 2 shown]
	s_delay_alu instid0(VALU_DEP_1) | instskip(SKIP_2) | instid1(VALU_DEP_1)
	v_fma_f64 v[24:25], v[174:175], v[174:175], v[24:25]
	v_dual_mov_b32 v175, v117 :: v_dual_mov_b32 v174, v116
	s_waitcnt vmcnt(0)
	v_mul_f64 v[34:35], v[174:175], v[154:155]
	s_delay_alu instid0(VALU_DEP_3) | instskip(NEXT) | instid1(VALU_DEP_1)
	v_mul_f64 v[24:25], v[126:127], v[24:25]
	v_fma_f64 v[24:25], v[52:53], v[26:27], v[24:25]
	v_add_f64 v[26:27], v[22:23], v[12:13]
	s_delay_alu instid0(VALU_DEP_2) | instskip(SKIP_1) | instid1(VALU_DEP_2)
	v_add_f64 v[18:19], v[20:21], v[24:25]
	v_add_f64 v[20:21], v[20:21], v[12:13]
	v_fma_f64 v[18:19], 0x40080000, v[26:27], v[18:19]
	scratch_load_b32 v26, off, off offset:72 ; 4-byte Folded Reload
	v_fma_f64 v[20:21], 0xbfe80000, v[20:21], v[22:23]
	s_waitcnt vmcnt(0)
	v_add_nc_u32_e32 v26, s6, v26
	s_delay_alu instid0(VALU_DEP_1) | instskip(NEXT) | instid1(VALU_DEP_1)
	v_ashrrev_i32_e32 v27, 31, v26
	v_lshlrev_b64 v[72:73], 3, v[26:27]
	s_delay_alu instid0(VALU_DEP_1) | instskip(NEXT) | instid1(VALU_DEP_2)
	v_add_co_u32 v28, vcc_lo, s12, v72
	v_add_co_ci_u32_e32 v29, vcc_lo, s13, v73, vcc_lo
	global_load_b128 v[110:113], v[28:29], off
	s_waitcnt vmcnt(0)
	v_add_f64 v[26:27], v[110:111], -v[48:49]
	s_delay_alu instid0(VALU_DEP_1) | instskip(SKIP_3) | instid1(VALU_DEP_1)
	v_mul_f64 v[18:19], v[18:19], v[26:27]
	scratch_load_b32 v26, off, off offset:60 ; 4-byte Folded Reload
	s_waitcnt vmcnt(0)
	v_add_nc_u32_e32 v26, s6, v26
	v_ashrrev_i32_e32 v27, 31, v26
	s_delay_alu instid0(VALU_DEP_1) | instskip(NEXT) | instid1(VALU_DEP_1)
	v_lshlrev_b64 v[94:95], 3, v[26:27]
	v_add_co_u32 v110, vcc_lo, s12, v94
	s_delay_alu instid0(VALU_DEP_2) | instskip(SKIP_3) | instid1(VALU_DEP_1)
	v_add_co_ci_u32_e32 v111, vcc_lo, s13, v95, vcc_lo
	global_load_b128 v[126:129], v[110:111], off
	s_waitcnt vmcnt(0)
	v_add_f64 v[26:27], v[126:127], -v[48:49]
	v_fma_f64 v[18:19], v[20:21], v[26:27], v[18:19]
	v_mul_f64 v[20:21], v[98:99], v[42:43]
	v_fma_f64 v[26:27], v[10:11], 2.0, v[14:15]
	s_delay_alu instid0(VALU_DEP_2) | instskip(NEXT) | instid1(VALU_DEP_2)
	v_mul_f64 v[20:21], v[42:43], v[20:21]
	v_mul_f64 v[126:127], v[26:27], v[80:81]
	s_delay_alu instid0(VALU_DEP_2) | instskip(NEXT) | instid1(VALU_DEP_2)
	v_mul_f64 v[20:21], v[98:99], v[20:21]
	v_mul_f64 v[26:27], v[52:53], v[126:127]
	s_delay_alu instid0(VALU_DEP_2) | instskip(NEXT) | instid1(VALU_DEP_2)
	v_fma_f64 v[20:21], v[46:47], v[46:47], v[20:21]
	v_mul_f64 v[26:27], v[80:81], v[26:27]
	v_div_fixup_f64 v[80:81], v[6:7], v[52:53], 1.0
	s_delay_alu instid0(VALU_DEP_3) | instskip(SKIP_3) | instid1(VALU_DEP_2)
	v_mul_f64 v[20:21], v[10:11], v[20:21]
	scratch_load_b32 v10, off, off offset:296 ; 4-byte Folded Reload
	v_fma_f64 v[20:21], v[52:53], v[26:27], v[20:21]
	v_add_f64 v[26:27], v[12:13], v[24:25]
	v_add_f64 v[22:23], v[22:23], v[20:21]
	;; [unrolled: 1-line block ×3, first 2 shown]
	v_add_nc_u32_e32 v20, s6, v32
	s_delay_alu instid0(VALU_DEP_1) | instskip(NEXT) | instid1(VALU_DEP_4)
	v_ashrrev_i32_e32 v21, 31, v20
	v_fma_f64 v[22:23], 0x40080000, v[26:27], v[22:23]
	s_delay_alu instid0(VALU_DEP_4) | instskip(SKIP_2) | instid1(VALU_DEP_1)
	v_fma_f64 v[12:13], 0xbfe80000, v[12:13], v[24:25]
	s_waitcnt vmcnt(0)
	v_add_nc_u32_e32 v26, s6, v10
	v_ashrrev_i32_e32 v27, 31, v26
	s_delay_alu instid0(VALU_DEP_1) | instskip(NEXT) | instid1(VALU_DEP_1)
	v_lshlrev_b64 v[158:159], 3, v[26:27]
	v_add_co_u32 v188, vcc_lo, s12, v158
	s_delay_alu instid0(VALU_DEP_2) | instskip(SKIP_4) | instid1(VALU_DEP_1)
	v_add_co_ci_u32_e32 v189, vcc_lo, s13, v159, vcc_lo
	global_load_b128 v[36:39], v[188:189], off
	s_waitcnt vmcnt(0)
	v_add_f64 v[26:27], v[36:37], -v[48:49]
	v_lshlrev_b64 v[36:37], 3, v[20:21]
	v_add_co_u32 v10, vcc_lo, s12, v36
	s_delay_alu instid0(VALU_DEP_2)
	v_add_co_ci_u32_e32 v11, vcc_lo, s13, v37, vcc_lo
	global_load_b128 v[44:47], v[10:11], off
	v_fma_f64 v[18:19], v[26:27], v[22:23], v[18:19]
	s_waitcnt vmcnt(0)
	v_add_f64 v[20:21], v[44:45], -v[48:49]
	v_div_fixup_f64 v[44:45], v[4:5], v[98:99], 1.0
	v_mul_f64 v[4:5], v[0:1], s[0:1]
	s_delay_alu instid0(VALU_DEP_3) | instskip(NEXT) | instid1(VALU_DEP_2)
	v_fma_f64 v[12:13], v[20:21], v[12:13], v[18:19]
	v_fma_f64 v[4:5], v[44:45], v[4:5], 0
	s_delay_alu instid0(VALU_DEP_2) | instskip(NEXT) | instid1(VALU_DEP_2)
	v_mul_f64 v[6:7], v[12:13], s[0:1]
	v_fma_f64 v[4:5], v[80:81], v[8:9], v[4:5]
	v_mul_f64 v[8:9], v[80:81], v[44:45]
	s_delay_alu instid0(VALU_DEP_1) | instskip(SKIP_1) | instid1(VALU_DEP_2)
	v_fma_f64 v[4:5], v[8:9], v[6:7], v[4:5]
	v_mul_f64 v[8:9], v[104:105], v[152:153]
	v_fma_f64 v[0:1], v[16:17], s[0:1], v[4:5]
	s_delay_alu instid0(VALU_DEP_2)
	v_mul_f64 v[8:9], v[66:67], v[8:9]
	scratch_store_b64 off, v[0:1], off offset:60 ; 8-byte Folded Spill
	v_mul_f64 v[0:1], v[2:3], s[0:1]
	s_mov_b32 s1, 0x3fb55555
	scratch_store_b64 off, v[0:1], off offset:72 ; 8-byte Folded Spill
	s_clause 0x5
	global_load_b128 v[152:155], v[110:111], off offset:-16
	global_load_b128 v[12:15], v[10:11], off offset:-16
	;; [unrolled: 1-line block ×6, first 2 shown]
	s_waitcnt vmcnt(4)
	v_add_f64 v[2:3], v[12:13], -v[152:153]
	s_waitcnt vmcnt(2)
	v_add_f64 v[18:19], v[4:5], -v[48:49]
	v_add_f64 v[114:115], v[6:7], -v[50:51]
	;; [unrolled: 1-line block ×5, first 2 shown]
	v_mul_f64 v[16:17], v[2:3], s[0:1]
	s_delay_alu instid0(VALU_DEP_1) | instskip(SKIP_2) | instid1(VALU_DEP_2)
	v_fma_f64 v[2:3], v[18:19], s[4:5], -v[16:17]
	s_waitcnt vmcnt(0)
	v_add_f64 v[16:17], v[30:31], -v[20:21]
	v_mul_f64 v[2:3], v[2:3], v[76:77]
	s_delay_alu instid0(VALU_DEP_2)
	v_mul_f64 v[0:1], v[16:17], s[0:1]
	s_clause 0x1
	global_load_b128 v[24:27], v[130:131], off offset:-16
	global_load_b128 v[16:19], v[172:173], off offset:-16
	scratch_load_b32 v40, off, off offset:392 ; 4-byte Folded Reload
	s_waitcnt vmcnt(1)
	v_add_f64 v[134:135], v[16:17], -v[24:25]
	v_add_f64 v[60:61], v[18:19], -v[26:27]
	s_delay_alu instid0(VALU_DEP_2) | instskip(SKIP_2) | instid1(VALU_DEP_3)
	v_fma_f64 v[0:1], v[134:135], s[4:5], -v[0:1]
	v_add_f64 v[134:135], v[14:15], -v[154:155]
	v_add_f64 v[14:15], v[46:47], -v[14:15]
	v_mul_f64 v[0:1], v[0:1], v[8:9]
	s_delay_alu instid0(VALU_DEP_3) | instskip(SKIP_1) | instid1(VALU_DEP_3)
	v_mul_f64 v[134:135], v[134:135], s[0:1]
	v_mul_f64 v[8:9], v[68:69], v[160:161]
	;; [unrolled: 1-line block ×3, first 2 shown]
	s_delay_alu instid0(VALU_DEP_3) | instskip(SKIP_1) | instid1(VALU_DEP_3)
	v_fma_f64 v[114:115], v[114:115], s[4:5], -v[134:135]
	v_add_f64 v[134:135], v[32:33], -v[22:23]
	v_fma_f64 v[0:1], v[166:167], v[2:3], v[0:1]
	s_delay_alu instid0(VALU_DEP_3) | instskip(NEXT) | instid1(VALU_DEP_3)
	v_mul_f64 v[76:77], v[114:115], v[8:9]
	v_mul_f64 v[134:135], v[134:135], s[0:1]
	;; [unrolled: 1-line block ×3, first 2 shown]
	scratch_store_b64 off, v[0:1], off offset:296 ; 8-byte Folded Spill
	v_fma_f64 v[60:61], v[60:61], s[4:5], -v[134:135]
	s_delay_alu instid0(VALU_DEP_1) | instskip(SKIP_1) | instid1(VALU_DEP_1)
	v_mul_f64 v[34:35], v[60:61], v[8:9]
	v_add_nc_u32_e32 v8, s20, v182
	v_add3_u32 v9, v56, s7, v8
	s_delay_alu instid0(VALU_DEP_1) | instskip(SKIP_1) | instid1(VALU_DEP_2)
	v_add_nc_u32_e32 v2, v9, v41
	v_add_nc_u32_e32 v78, v9, v187
	v_ashrrev_i32_e32 v3, 31, v2
	s_delay_alu instid0(VALU_DEP_2) | instskip(NEXT) | instid1(VALU_DEP_2)
	v_ashrrev_i32_e32 v79, 31, v78
	v_lshlrev_b64 v[2:3], 3, v[2:3]
	s_delay_alu instid0(VALU_DEP_2) | instskip(NEXT) | instid1(VALU_DEP_2)
	v_lshlrev_b64 v[78:79], 3, v[78:79]
	v_add_co_u32 v2, vcc_lo, s12, v2
	s_delay_alu instid0(VALU_DEP_3)
	v_add_co_ci_u32_e32 v3, vcc_lo, s13, v3, vcc_lo
	v_mul_f64 v[0:1], v[98:99], v[34:35]
	scratch_load_b32 v34, off, off offset:396 ; 4-byte Folded Reload
	v_fma_f64 v[140:141], v[168:169], v[76:77], v[0:1]
	v_add3_u32 v77, v180, s7, v8
	v_mul_f64 v[0:1], v[120:121], v[74:75]
	s_delay_alu instid0(VALU_DEP_2) | instskip(SKIP_1) | instid1(VALU_DEP_2)
	v_add_nc_u32_e32 v60, v77, v41
	v_add_nc_u32_e32 v120, v77, v187
	v_ashrrev_i32_e32 v61, 31, v60
	s_delay_alu instid0(VALU_DEP_2) | instskip(NEXT) | instid1(VALU_DEP_2)
	v_ashrrev_i32_e32 v121, 31, v120
	v_lshlrev_b64 v[60:61], 3, v[60:61]
	s_delay_alu instid0(VALU_DEP_2)
	v_lshlrev_b64 v[120:121], 3, v[120:121]
	v_mul_f64 v[0:1], v[82:83], v[0:1]
	s_waitcnt vmcnt(0)
	v_add3_u32 v76, v34, s7, v8
	v_add3_u32 v8, v40, s7, v8
	s_mul_i32 s7, s6, 3
	s_delay_alu instid0(VALU_DEP_2) | instskip(NEXT) | instid1(VALU_DEP_2)
	v_add_nc_u32_e32 v34, v76, v41
	v_add_nc_u32_e32 v74, v8, v41
	;; [unrolled: 1-line block ×5, first 2 shown]
	v_ashrrev_i32_e32 v35, 31, v34
	v_ashrrev_i32_e32 v75, 31, v74
	;; [unrolled: 1-line block ×5, first 2 shown]
	v_lshlrev_b64 v[34:35], 3, v[34:35]
	v_lshlrev_b64 v[74:75], 3, v[74:75]
	;; [unrolled: 1-line block ×4, first 2 shown]
	v_add_nc_u32_e32 v182, v76, v185
	v_lshlrev_b64 v[122:123], 3, v[122:123]
	v_add_co_u32 v34, vcc_lo, s12, v34
	v_add_co_ci_u32_e32 v35, vcc_lo, s13, v35, vcc_lo
	v_add_co_u32 v60, vcc_lo, s12, v60
	v_add_co_ci_u32_e32 v61, vcc_lo, s13, v61, vcc_lo
	;; [unrolled: 2-line block ×7, first 2 shown]
	s_clause 0x7
	global_load_b64 v[166:167], v[78:79], off
	global_load_b64 v[114:115], v[114:115], off
	;; [unrolled: 1-line block ×8, first 2 shown]
	s_waitcnt vmcnt(6)
	v_add_f64 v[78:79], v[166:167], -v[114:115]
	s_waitcnt vmcnt(4)
	v_add_f64 v[120:121], v[168:169], -v[134:135]
	;; [unrolled: 2-line block ×3, first 2 shown]
	s_delay_alu instid0(VALU_DEP_3) | instskip(NEXT) | instid1(VALU_DEP_1)
	v_mul_f64 v[78:79], v[78:79], s[0:1]
	v_fma_f64 v[78:79], v[120:121], s[4:5], -v[78:79]
	v_add_f64 v[120:121], v[2:3], -v[34:35]
	v_add_f64 v[2:3], v[2:3], -v[166:167]
	;; [unrolled: 1-line block ×3, first 2 shown]
	s_delay_alu instid0(VALU_DEP_4) | instskip(NEXT) | instid1(VALU_DEP_4)
	v_mul_f64 v[78:79], v[183:184], v[78:79]
	v_mul_f64 v[120:121], v[120:121], s[0:1]
	v_ashrrev_i32_e32 v183, 31, v182
	v_add_nc_u32_e32 v184, v8, v185
	v_mul_f64 v[2:3], v[2:3], s[0:1]
	s_delay_alu instid0(VALU_DEP_3) | instskip(SKIP_2) | instid1(VALU_DEP_1)
	v_lshlrev_b64 v[182:183], 3, v[182:183]
	v_fma_f64 v[120:121], v[180:181], s[4:5], -v[120:121]
	v_add_nc_u32_e32 v180, v9, v185
	v_ashrrev_i32_e32 v181, 31, v180
	s_delay_alu instid0(VALU_DEP_1) | instskip(NEXT) | instid1(VALU_DEP_4)
	v_lshlrev_b64 v[180:181], 3, v[180:181]
	v_fma_f64 v[116:117], v[84:85], v[120:121], -v[78:79]
	v_add_nc_u32_e32 v78, v9, v186
	v_add_nc_u32_e32 v84, v76, v186
	;; [unrolled: 1-line block ×4, first 2 shown]
	v_ashrrev_i32_e32 v185, 31, v184
	v_ashrrev_i32_e32 v79, 31, v78
	;; [unrolled: 1-line block ×5, first 2 shown]
	v_lshlrev_b64 v[184:185], 3, v[184:185]
	v_lshlrev_b64 v[78:79], 3, v[78:79]
	;; [unrolled: 1-line block ×5, first 2 shown]
	s_delay_alu instid0(VALU_DEP_4)
	v_add_co_u32 v78, vcc_lo, s12, v78
	v_add_co_ci_u32_e32 v79, vcc_lo, s13, v79, vcc_lo
	v_add_co_u32 v84, vcc_lo, s12, v84
	v_add_co_ci_u32_e32 v85, vcc_lo, s13, v85, vcc_lo
	;; [unrolled: 2-line block ×8, first 2 shown]
	s_clause 0x3
	global_load_b64 v[180:181], v[180:181], off
	global_load_b64 v[182:183], v[182:183], off
	;; [unrolled: 1-line block ×4, first 2 shown]
	s_waitcnt vmcnt(2)
	v_add_f64 v[76:77], v[180:181], -v[182:183]
	s_waitcnt vmcnt(0)
	v_add_f64 v[8:9], v[186:187], -v[184:185]
	s_delay_alu instid0(VALU_DEP_2) | instskip(NEXT) | instid1(VALU_DEP_1)
	v_mul_f64 v[76:77], v[76:77], s[0:1]
	v_fma_f64 v[8:9], v[8:9], s[4:5], -v[76:77]
	s_clause 0x3
	global_load_b64 v[76:77], v[78:79], off
	global_load_b64 v[84:85], v[84:85], off
	global_load_b64 v[120:121], v[120:121], off
	global_load_b64 v[122:123], v[122:123], off
	scratch_load_b64 v[40:41], off, off offset:384 ; 8-byte Folded Reload
	s_clause 0x1
	global_load_b64 v[10:11], v[10:11], off offset:16
	global_load_b64 v[28:29], v[28:29], off offset:16
	s_waitcnt vmcnt(5)
	v_add_f64 v[78:79], v[76:77], -v[84:85]
	s_waitcnt vmcnt(3)
	v_add_f64 v[86:87], v[120:121], -v[122:123]
	s_waitcnt vmcnt(2)
	v_mul_f64 v[8:9], v[40:41], v[8:9]
	s_waitcnt vmcnt(1)
	v_add_f64 v[12:13], v[10:11], -v[12:13]
	v_dual_mov_b32 v40, v174 :: v_dual_mov_b32 v41, v175
	v_mul_f64 v[78:79], v[78:79], s[0:1]
	s_delay_alu instid0(VALU_DEP_3) | instskip(NEXT) | instid1(VALU_DEP_2)
	v_mul_f64 v[12:13], v[12:13], s[0:1]
	v_fma_f64 v[78:79], v[86:87], s[4:5], -v[78:79]
	global_load_b64 v[86:87], v[188:189], off offset:16
	v_fma_f64 v[12:13], v[14:15], s[4:5], -v[12:13]
	v_fma_f64 v[78:79], v[102:103], v[78:79], -v[8:9]
	v_add_f64 v[8:9], v[76:77], -v[180:181]
	v_add_f64 v[76:77], v[84:85], -v[182:183]
	s_delay_alu instid0(VALU_DEP_2) | instskip(SKIP_2) | instid1(VALU_DEP_2)
	v_fma_f64 v[2:3], v[8:9], s[4:5], -v[2:3]
	v_mul_f64 v[8:9], v[34:35], s[0:1]
	v_mul_f64 v[34:35], v[104:105], v[66:67]
	v_fma_f64 v[8:9], v[76:77], s[4:5], -v[8:9]
	s_delay_alu instid0(VALU_DEP_2) | instskip(SKIP_1) | instid1(VALU_DEP_2)
	v_mul_f64 v[34:35], v[66:67], v[34:35]
	v_add_f64 v[76:77], v[128:129], -v[154:155]
	v_mul_f64 v[8:9], v[34:35], v[8:9]
	v_mul_f64 v[34:35], v[108:109], v[164:165]
	s_delay_alu instid0(VALU_DEP_1) | instskip(NEXT) | instid1(VALU_DEP_1)
	v_mul_f64 v[34:35], v[164:165], v[34:35]
	v_fma_f64 v[34:35], v[34:35], v[2:3], -v[8:9]
	v_add_f64 v[2:3], v[60:61], -v[168:169]
	v_add_f64 v[8:9], v[120:121], -v[186:187]
	;; [unrolled: 1-line block ×4, first 2 shown]
	s_delay_alu instid0(VALU_DEP_4) | instskip(NEXT) | instid1(VALU_DEP_1)
	v_mul_f64 v[2:3], v[2:3], s[0:1]
	v_fma_f64 v[2:3], v[8:9], s[4:5], -v[2:3]
	s_delay_alu instid0(VALU_DEP_4) | instskip(SKIP_3) | instid1(VALU_DEP_3)
	v_mul_f64 v[8:9], v[60:61], s[0:1]
	v_mul_f64 v[60:61], v[174:175], v[68:69]
	s_waitcnt vmcnt(0)
	v_add_f64 v[4:5], v[86:87], -v[4:5]
	v_fma_f64 v[8:9], v[74:75], s[4:5], -v[8:9]
	s_delay_alu instid0(VALU_DEP_3) | instskip(NEXT) | instid1(VALU_DEP_3)
	v_mul_f64 v[60:61], v[68:69], v[60:61]
	v_mul_f64 v[4:5], v[4:5], s[0:1]
	s_delay_alu instid0(VALU_DEP_2) | instskip(SKIP_1) | instid1(VALU_DEP_3)
	v_mul_f64 v[8:9], v[60:61], v[8:9]
	v_mul_f64 v[60:61], v[146:147], v[82:83]
	v_fma_f64 v[4:5], v[6:7], s[4:5], -v[4:5]
	s_delay_alu instid0(VALU_DEP_2) | instskip(NEXT) | instid1(VALU_DEP_1)
	v_mul_f64 v[60:61], v[82:83], v[60:61]
	v_fma_f64 v[84:85], v[60:61], v[2:3], -v[8:9]
	v_add_co_u32 v2, vcc_lo, s18, v94
	v_add_co_ci_u32_e32 v3, vcc_lo, s19, v95, vcc_lo
	v_add_f64 v[94:95], v[46:47], -v[128:129]
	v_add_f64 v[46:47], v[28:29], -v[48:49]
	v_add_co_u32 v8, vcc_lo, s18, v158
	v_add_co_ci_u32_e32 v9, vcc_lo, s19, v159, vcc_lo
	v_add_co_u32 v60, vcc_lo, s18, v72
	v_add_co_ci_u32_e32 v61, vcc_lo, s19, v73, vcc_lo
	global_load_b64 v[112:113], v[8:9], off
	v_add_co_u32 v36, vcc_lo, s18, v36
	v_add_co_ci_u32_e32 v37, vcc_lo, s19, v37, vcc_lo
	global_load_b64 v[72:73], v[110:111], off offset:16
	v_mul_f64 v[48:49], v[146:147], v[90:91]
	global_load_b64 v[122:123], v[36:37], off
	v_mul_f64 v[6:7], v[46:47], s[0:1]
	v_mul_f64 v[46:47], v[94:95], s[0:1]
	global_load_b64 v[94:95], v[2:3], off
	v_fma_f64 v[6:7], v[50:51], s[4:5], -v[6:7]
	v_fma_f64 v[38:39], v[38:39], s[4:5], -v[46:47]
	v_add_f64 v[46:47], v[62:63], -v[118:119]
	v_add_f64 v[50:51], v[58:59], -v[144:145]
	;; [unrolled: 1-line block ×4, first 2 shown]
	v_mul_f64 v[0:1], v[38:39], v[0:1]
	v_mul_f64 v[46:47], v[46:47], s[0:1]
	s_delay_alu instid0(VALU_DEP_1)
	v_fma_f64 v[46:47], v[50:51], s[4:5], -v[46:47]
	s_waitcnt vmcnt(3)
	v_mul_f64 v[8:9], v[64:65], v[112:113]
	global_load_b64 v[64:65], v[60:61], off
	s_waitcnt vmcnt(2)
	v_mul_f64 v[36:37], v[126:127], v[122:123]
	v_add_f64 v[126:127], v[118:119], -v[22:23]
	s_waitcnt vmcnt(1)
	v_mul_f64 v[2:3], v[162:163], v[94:95]
	v_mul_f64 v[4:5], v[8:9], v[4:5]
	s_delay_alu instid0(VALU_DEP_4) | instskip(NEXT) | instid1(VALU_DEP_1)
	v_mul_f64 v[12:13], v[36:37], v[12:13]
	v_mul_f64 v[90:91], v[52:53], v[12:13]
	s_waitcnt vmcnt(0)
	v_mul_f64 v[8:9], v[178:179], v[64:65]
	s_delay_alu instid0(VALU_DEP_1) | instskip(SKIP_2) | instid1(VALU_DEP_2)
	v_mul_f64 v[6:7], v[8:9], v[6:7]
	v_mul_f64 v[8:9], v[82:83], v[48:49]
	v_add_f64 v[48:49], v[144:145], -v[26:27]
	v_mul_f64 v[8:9], v[46:47], v[8:9]
	s_delay_alu instid0(VALU_DEP_1) | instskip(NEXT) | instid1(VALU_DEP_1)
	v_mul_f64 v[8:9], v[98:99], v[8:9]
	v_fma_f64 v[162:163], v[54:55], v[0:1], v[8:9]
	v_mul_f64 v[54:55], v[52:53], v[4:5]
	s_clause 0x1
	global_load_b64 v[0:1], v[124:125], off offset:16
	global_load_b64 v[4:5], v[130:131], off offset:16
	v_add_f64 v[74:75], v[72:73], -v[152:153]
	v_add_f64 v[8:9], v[10:11], -v[72:73]
	v_dual_mov_b32 v111, v97 :: v_dual_mov_b32 v110, v96
	s_delay_alu instid0(VALU_DEP_3) | instskip(NEXT) | instid1(VALU_DEP_1)
	v_mul_f64 v[14:15], v[74:75], s[0:1]
	v_fma_f64 v[14:15], v[76:77], s[4:5], -v[14:15]
	s_delay_alu instid0(VALU_DEP_1)
	v_mul_f64 v[2:3], v[2:3], v[14:15]
	scratch_load_b64 v[14:15], off, off offset:328 ; 8-byte Folded Reload
	v_mul_f64 v[46:47], v[52:53], v[2:3]
	global_load_b64 v[2:3], v[172:173], off offset:16
	v_mul_f64 v[52:53], v[52:53], v[6:7]
	v_add_f64 v[6:7], v[86:87], -v[28:29]
	s_waitcnt vmcnt(3)
	v_add_f64 v[128:129], v[0:1], -v[20:21]
	s_waitcnt vmcnt(2)
	v_add_f64 v[50:51], v[4:5], -v[24:25]
	s_delay_alu instid0(VALU_DEP_1) | instskip(NEXT) | instid1(VALU_DEP_1)
	v_mul_f64 v[50:51], v[50:51], s[0:1]
	v_fma_f64 v[48:49], v[48:49], s[4:5], -v[50:51]
	s_waitcnt vmcnt(0)
	v_add_f64 v[124:125], v[2:3], -v[16:17]
	v_add_f64 v[2:3], v[2:3], -v[4:5]
	global_load_b64 v[4:5], v[176:177], off offset:16
	s_waitcnt vmcnt(0)
	v_add_f64 v[130:131], v[4:5], -v[30:31]
	v_add_f64 v[0:1], v[4:5], -v[0:1]
	global_load_b64 v[4:5], v[170:171], off offset:16
	v_mul_f64 v[0:1], v[0:1], s[0:1]
	s_delay_alu instid0(VALU_DEP_1) | instskip(SKIP_4) | instid1(VALU_DEP_2)
	v_fma_f64 v[172:173], v[2:3], s[4:5], -v[0:1]
	global_load_b64 v[0:1], v[138:139], off offset:16
	s_waitcnt vmcnt(1)
	v_mul_f64 v[18:19], v[142:143], v[4:5]
	v_mul_f64 v[4:5], v[8:9], s[0:1]
	;; [unrolled: 1-line block ×3, first 2 shown]
	s_delay_alu instid0(VALU_DEP_2)
	v_fma_f64 v[170:171], v[6:7], s[4:5], -v[4:5]
	scratch_load_b128 v[4:7], off, off offset:336 ; 16-byte Folded Reload
	s_waitcnt vmcnt(1)
	v_mul_f64 v[0:1], v[108:109], v[0:1]
	v_mul_f64 v[2:3], v[170:171], v[2:3]
	;; [unrolled: 1-line block ×3, first 2 shown]
	s_delay_alu instid0(VALU_DEP_3) | instskip(NEXT) | instid1(VALU_DEP_1)
	v_mul_f64 v[0:1], v[164:165], v[0:1]
	v_mul_f64 v[0:1], v[172:173], v[0:1]
	s_delay_alu instid0(VALU_DEP_1) | instskip(NEXT) | instid1(VALU_DEP_1)
	v_mul_f64 v[0:1], v[98:99], v[0:1]
	v_fma_f64 v[8:9], v[132:133], v[2:3], v[0:1]
	global_load_b128 v[0:3], v[106:107], off offset:-16
	s_waitcnt vmcnt(1)
	v_dual_mov_b32 v11, v7 :: v_dual_mov_b32 v10, v6
	s_clause 0x1
	global_load_b128 v[4:7], v[14:15], off offset:-16
	global_load_b64 v[14:15], v[14:15], off offset:16
	v_add_f64 v[172:173], v[136:137], -v[10:11]
	s_waitcnt vmcnt(2)
	v_add_f64 v[146:147], v[136:137], -v[2:3]
	s_waitcnt vmcnt(1)
	v_add_f64 v[74:75], v[10:11], -v[6:7]
	global_load_b64 v[10:11], v[106:107], off offset:16
	v_add_f64 v[12:13], v[0:1], -v[4:5]
	v_add_f64 v[168:169], v[2:3], -v[6:7]
	v_dual_mov_b32 v107, v89 :: v_dual_mov_b32 v106, v88
	s_waitcnt vmcnt(1)
	v_add_f64 v[148:149], v[14:15], -v[4:5]
	s_waitcnt vmcnt(0)
	v_add_f64 v[152:153], v[10:11], -v[0:1]
	global_load_b128 v[0:3], v[150:151], off offset:-16
	s_clause 0x1
	scratch_load_b128 v[16:19], off, off offset:352
	scratch_load_b128 v[4:7], off, off offset:304
	v_add_f64 v[10:11], v[10:11], -v[14:15]
	global_load_b64 v[14:15], v[150:151], off offset:16
	s_waitcnt vmcnt(2)
	v_add_f64 v[144:145], v[18:19], -v[2:3]
	s_waitcnt vmcnt(1)
	v_dual_mov_b32 v17, v7 :: v_dual_mov_b32 v16, v6
	global_load_b128 v[4:7], v[190:191], off offset:-16
	s_waitcnt vmcnt(1)
	v_add_f64 v[150:151], v[14:15], -v[0:1]
	v_add_f64 v[174:175], v[18:19], -v[16:17]
	scratch_load_b64 v[18:19], off, off offset:320 ; 8-byte Folded Reload
	v_mul_f64 v[50:51], v[150:151], s[0:1]
	s_delay_alu instid0(VALU_DEP_1)
	v_fma_f64 v[50:51], v[144:145], s[4:5], -v[50:51]
	s_waitcnt vmcnt(1)
	v_add_f64 v[22:23], v[16:17], -v[6:7]
	v_add_f64 v[166:167], v[2:3], -v[6:7]
	global_load_b64 v[2:3], v[190:191], off offset:16
	v_mul_f64 v[6:7], v[10:11], s[0:1]
	v_add_f64 v[0:1], v[0:1], -v[4:5]
	s_waitcnt vmcnt(1)
	global_load_b64 v[16:17], v[18:19], off offset:16
	s_waitcnt vmcnt(1)
	v_add_f64 v[102:103], v[2:3], -v[4:5]
	v_add_f64 v[2:3], v[14:15], -v[2:3]
	s_waitcnt vmcnt(0)
	v_mul_f64 v[16:17], v[108:109], v[16:17]
	s_delay_alu instid0(VALU_DEP_2) | instskip(NEXT) | instid1(VALU_DEP_2)
	v_fma_f64 v[2:3], v[2:3], s[4:5], -v[6:7]
	v_mul_f64 v[4:5], v[164:165], v[16:17]
	global_load_b128 v[16:19], v[18:19], off offset:-16
	v_fma_f64 v[10:11], v[2:3], v[4:5], v[8:9]
	v_mul_f64 v[2:3], v[12:13], s[0:1]
	v_mul_f64 v[4:5], v[172:173], s[0:1]
	s_delay_alu instid0(VALU_DEP_2) | instskip(SKIP_4) | instid1(VALU_DEP_1)
	v_fma_f64 v[160:161], v[0:1], s[4:5], -v[2:3]
	scratch_load_b64 v[2:3], off, off offset:296 ; 8-byte Folded Reload
	v_fma_f64 v[4:5], v[174:175], s[4:5], -v[4:5]
	s_waitcnt vmcnt(1)
	v_mul_f64 v[0:1], v[104:105], v[16:17]
	v_mul_f64 v[0:1], v[66:67], v[0:1]
	s_waitcnt vmcnt(0)
	s_delay_alu instid0(VALU_DEP_1) | instskip(SKIP_2) | instid1(VALU_DEP_3)
	v_fma_f64 v[12:13], v[160:161], v[0:1], v[2:3]
	v_mul_f64 v[0:1], v[82:83], v[170:171]
	v_mul_f64 v[2:3], v[40:41], v[18:19]
	v_add_f64 v[10:11], v[10:11], -v[12:13]
	s_delay_alu instid0(VALU_DEP_3) | instskip(NEXT) | instid1(VALU_DEP_3)
	v_fma_f64 v[20:21], v[4:5], v[0:1], v[162:163]
	v_mul_f64 v[0:1], v[68:69], v[2:3]
	v_mul_f64 v[2:3], v[168:169], s[0:1]
	s_delay_alu instid0(VALU_DEP_4) | instskip(NEXT) | instid1(VALU_DEP_2)
	v_mul_f64 v[10:11], v[10:11], s[0:1]
	v_fma_f64 v[2:3], v[166:167], s[4:5], -v[2:3]
	s_delay_alu instid0(VALU_DEP_1)
	v_fma_f64 v[14:15], v[2:3], v[0:1], v[140:141]
	s_clause 0x4
	scratch_load_b32 v19, off, off offset:292
	scratch_load_b32 v2, off, off offset:288
	;; [unrolled: 1-line block ×5, first 2 shown]
	v_add_f64 v[12:13], v[20:21], -v[14:15]
	s_delay_alu instid0(VALU_DEP_1)
	v_fma_f64 v[10:11], v[12:13], s[4:5], -v[10:11]
	s_waitcnt vmcnt(4)
	v_mov_b32_e32 v28, v19
	s_waitcnt vmcnt(3)
	v_add3_u32 v160, v19, v2, s6
	v_mov_b32_e32 v6, v2
	s_waitcnt vmcnt(2)
	v_add3_u32 v158, v9, v2, s6
	s_waitcnt vmcnt(1)
	v_dual_mov_b32 v31, v18 :: v_dual_mov_b32 v30, v9
	v_ashrrev_i32_e32 v161, 31, v160
	v_add3_u32 v156, v18, v6, s6
	v_ashrrev_i32_e32 v159, 31, v158
	s_waitcnt vmcnt(0)
	v_add3_u32 v16, v8, v6, s6
	v_mov_b32_e32 v33, v8
	v_lshlrev_b64 v[0:1], 3, v[160:161]
	v_ashrrev_i32_e32 v157, 31, v156
	v_lshlrev_b64 v[2:3], 3, v[158:159]
	v_ashrrev_i32_e32 v17, 31, v16
	s_delay_alu instid0(VALU_DEP_4) | instskip(NEXT) | instid1(VALU_DEP_4)
	v_add_co_u32 v0, vcc_lo, s12, v0
	v_lshlrev_b64 v[4:5], 3, v[156:157]
	v_add_co_ci_u32_e32 v1, vcc_lo, s13, v1, vcc_lo
	v_add_co_u32 v2, vcc_lo, s12, v2
	v_lshlrev_b64 v[6:7], 3, v[16:17]
	v_add_co_ci_u32_e32 v3, vcc_lo, s13, v3, vcc_lo
	v_add_co_u32 v4, vcc_lo, s12, v4
	v_add_co_ci_u32_e32 v5, vcc_lo, s13, v5, vcc_lo
	s_delay_alu instid0(VALU_DEP_4)
	v_add_co_u32 v6, vcc_lo, s12, v6
	v_add_co_ci_u32_e32 v7, vcc_lo, s13, v7, vcc_lo
	s_clause 0x3
	global_load_b64 v[163:164], v[0:1], off
	global_load_b64 v[169:170], v[2:3], off
	;; [unrolled: 1-line block ×4, first 2 shown]
	s_waitcnt vmcnt(2)
	v_add_f64 v[0:1], v[163:164], -v[169:170]
	s_waitcnt vmcnt(0)
	v_add_f64 v[2:3], v[173:174], -v[167:168]
	s_delay_alu instid0(VALU_DEP_2) | instskip(NEXT) | instid1(VALU_DEP_1)
	v_mul_f64 v[0:1], v[0:1], s[0:1]
	v_fma_f64 v[171:172], v[2:3], s[4:5], -v[0:1]
	scratch_load_b32 v2, off, off offset:32 ; 4-byte Folded Reload
	s_waitcnt vmcnt(0)
	v_add3_u32 v175, v19, v2, s6
	v_mov_b32_e32 v6, v2
	v_add3_u32 v165, v9, v2, s6
	s_delay_alu instid0(VALU_DEP_3) | instskip(NEXT) | instid1(VALU_DEP_3)
	v_ashrrev_i32_e32 v176, 31, v175
	v_add3_u32 v140, v18, v6, s6
	s_delay_alu instid0(VALU_DEP_3) | instskip(SKIP_1) | instid1(VALU_DEP_4)
	v_ashrrev_i32_e32 v166, 31, v165
	v_add3_u32 v17, v8, v6, s6
	v_lshlrev_b64 v[0:1], 3, v[175:176]
	s_delay_alu instid0(VALU_DEP_4) | instskip(NEXT) | instid1(VALU_DEP_4)
	v_ashrrev_i32_e32 v141, 31, v140
	v_lshlrev_b64 v[2:3], 3, v[165:166]
	s_delay_alu instid0(VALU_DEP_4) | instskip(NEXT) | instid1(VALU_DEP_4)
	v_ashrrev_i32_e32 v18, 31, v17
	v_add_co_u32 v0, vcc_lo, s12, v0
	s_delay_alu instid0(VALU_DEP_4)
	v_lshlrev_b64 v[4:5], 3, v[140:141]
	v_add_co_ci_u32_e32 v1, vcc_lo, s13, v1, vcc_lo
	v_add_co_u32 v2, vcc_lo, s12, v2
	v_lshlrev_b64 v[6:7], 3, v[17:18]
	v_add_co_ci_u32_e32 v3, vcc_lo, s13, v3, vcc_lo
	v_add_co_u32 v4, vcc_lo, s12, v4
	v_add_co_ci_u32_e32 v5, vcc_lo, s13, v5, vcc_lo
	s_delay_alu instid0(VALU_DEP_4)
	v_add_co_u32 v6, vcc_lo, s12, v6
	v_add_co_ci_u32_e32 v7, vcc_lo, s13, v7, vcc_lo
	s_clause 0x3
	global_load_b64 v[176:177], v[0:1], off
	global_load_b64 v[182:183], v[2:3], off
	;; [unrolled: 1-line block ×4, first 2 shown]
	s_waitcnt vmcnt(2)
	v_add_f64 v[0:1], v[176:177], -v[182:183]
	s_waitcnt vmcnt(0)
	v_add_f64 v[2:3], v[18:19], -v[180:181]
	v_add_f64 v[18:19], v[173:174], -v[18:19]
	s_delay_alu instid0(VALU_DEP_3) | instskip(NEXT) | instid1(VALU_DEP_1)
	v_mul_f64 v[0:1], v[0:1], s[0:1]
	v_fma_f64 v[186:187], v[2:3], s[4:5], -v[0:1]
	scratch_load_b32 v2, off, off offset:268 ; 4-byte Folded Reload
	s_waitcnt vmcnt(0)
	v_add3_u32 v184, v28, v2, s6
	v_mov_b32_e32 v6, v2
	v_add3_u32 v178, v30, v2, s6
	s_delay_alu instid0(VALU_DEP_3) | instskip(NEXT) | instid1(VALU_DEP_3)
	v_ashrrev_i32_e32 v185, 31, v184
	v_add3_u32 v154, v31, v6, s6
	s_delay_alu instid0(VALU_DEP_3) | instskip(SKIP_1) | instid1(VALU_DEP_4)
	v_ashrrev_i32_e32 v179, 31, v178
	v_add3_u32 v141, v33, v6, s6
	v_lshlrev_b64 v[0:1], 3, v[184:185]
	s_delay_alu instid0(VALU_DEP_4) | instskip(NEXT) | instid1(VALU_DEP_4)
	v_ashrrev_i32_e32 v155, 31, v154
	v_lshlrev_b64 v[2:3], 3, v[178:179]
	s_delay_alu instid0(VALU_DEP_4) | instskip(NEXT) | instid1(VALU_DEP_4)
	v_ashrrev_i32_e32 v142, 31, v141
	v_add_co_u32 v0, vcc_lo, s12, v0
	s_delay_alu instid0(VALU_DEP_4)
	v_lshlrev_b64 v[4:5], 3, v[154:155]
	v_add_co_ci_u32_e32 v1, vcc_lo, s13, v1, vcc_lo
	v_add_co_u32 v2, vcc_lo, s12, v2
	v_lshlrev_b64 v[6:7], 3, v[141:142]
	v_add_co_ci_u32_e32 v3, vcc_lo, s13, v3, vcc_lo
	v_add_co_u32 v4, vcc_lo, s12, v4
	v_add_co_ci_u32_e32 v5, vcc_lo, s13, v5, vcc_lo
	s_delay_alu instid0(VALU_DEP_4)
	v_add_co_u32 v6, vcc_lo, s12, v6
	v_add_co_ci_u32_e32 v7, vcc_lo, s13, v7, vcc_lo
	s_clause 0x3
	global_load_b64 v[0:1], v[0:1], off
	global_load_b64 v[2:3], v[2:3], off
	;; [unrolled: 1-line block ×4, first 2 shown]
	s_waitcnt vmcnt(2)
	v_add_f64 v[8:9], v[0:1], -v[2:3]
	s_waitcnt vmcnt(0)
	v_add_f64 v[24:25], v[4:5], -v[6:7]
	s_delay_alu instid0(VALU_DEP_2) | instskip(NEXT) | instid1(VALU_DEP_1)
	v_mul_f64 v[8:9], v[8:9], s[0:1]
	v_fma_f64 v[26:27], v[24:25], s[4:5], -v[8:9]
	scratch_load_b32 v24, off, off offset:68 ; 4-byte Folded Reload
	s_waitcnt vmcnt(0)
	v_add3_u32 v28, v28, v24, s6
	v_mov_b32_e32 v32, v24
	s_delay_alu instid0(VALU_DEP_2) | instskip(NEXT) | instid1(VALU_DEP_2)
	v_ashrrev_i32_e32 v29, 31, v28
	v_add3_u32 v161, v31, v32, s6
	v_add3_u32 v142, v33, v32, s6
	s_delay_alu instid0(VALU_DEP_3) | instskip(SKIP_1) | instid1(VALU_DEP_4)
	v_lshlrev_b64 v[8:9], 3, v[28:29]
	v_add3_u32 v29, v30, v24, s6
	v_ashrrev_i32_e32 v162, 31, v161
	s_delay_alu instid0(VALU_DEP_4) | instskip(SKIP_1) | instid1(VALU_DEP_4)
	v_ashrrev_i32_e32 v143, 31, v142
	v_add_nc_u32_e32 v72, s6, v161
	v_ashrrev_i32_e32 v30, 31, v29
	v_add_co_u32 v8, vcc_lo, s12, v8
	v_add_co_ci_u32_e32 v9, vcc_lo, s13, v9, vcc_lo
	s_delay_alu instid0(VALU_DEP_3) | instskip(SKIP_3) | instid1(VALU_DEP_4)
	v_lshlrev_b64 v[24:25], 3, v[29:30]
	v_lshlrev_b64 v[30:31], 3, v[161:162]
	;; [unrolled: 1-line block ×3, first 2 shown]
	v_ashrrev_i32_e32 v73, 31, v72
	v_add_co_u32 v24, vcc_lo, s12, v24
	v_add_co_ci_u32_e32 v25, vcc_lo, s13, v25, vcc_lo
	v_add_co_u32 v30, vcc_lo, s12, v30
	v_add_co_ci_u32_e32 v31, vcc_lo, s13, v31, vcc_lo
	;; [unrolled: 2-line block ×3, first 2 shown]
	s_clause 0x3
	global_load_b64 v[36:37], v[8:9], off
	global_load_b64 v[38:39], v[24:25], off
	global_load_b64 v[8:9], v[30:31], off
	global_load_b64 v[30:31], v[32:33], off
	v_lshlrev_b64 v[72:73], 3, v[72:73]
	s_waitcnt vmcnt(3)
	v_add_f64 v[0:1], v[0:1], -v[36:37]
	s_waitcnt vmcnt(2)
	v_add_f64 v[24:25], v[36:37], -v[38:39]
	;; [unrolled: 2-line block ×4, first 2 shown]
	v_mul_f64 v[8:9], v[18:19], s[0:1]
	v_mul_f64 v[18:19], v[110:111], v[92:93]
	v_add_f64 v[2:3], v[2:3], -v[38:39]
	v_add_f64 v[6:7], v[6:7], -v[30:31]
	;; [unrolled: 1-line block ×3, first 2 shown]
	v_mul_f64 v[24:25], v[24:25], s[0:1]
	v_fma_f64 v[4:5], v[4:5], s[4:5], -v[8:9]
	v_mul_f64 v[96:97], v[18:19], v[112:113]
	s_delay_alu instid0(VALU_DEP_4) | instskip(NEXT) | instid1(VALU_DEP_4)
	v_mul_f64 v[30:31], v[30:31], s[0:1]
	v_fma_f64 v[32:33], v[32:33], s[4:5], -v[24:25]
	scratch_load_b32 v24, off, off offset:144 ; 4-byte Folded Reload
	v_mul_f64 v[26:27], v[96:97], v[26:27]
	v_fma_f64 v[0:1], v[0:1], s[4:5], -v[30:31]
	s_delay_alu instid0(VALU_DEP_2) | instskip(SKIP_1) | instid1(VALU_DEP_1)
	v_mul_f64 v[138:139], v[98:99], v[26:27]
	v_add_f64 v[26:27], v[169:170], -v[182:183]
	v_mul_f64 v[26:27], v[26:27], s[0:1]
	s_delay_alu instid0(VALU_DEP_1) | instskip(SKIP_1) | instid1(VALU_DEP_1)
	v_fma_f64 v[2:3], v[2:3], s[4:5], -v[26:27]
	v_add_f64 v[26:27], v[167:168], -v[180:181]
	v_mul_f64 v[26:27], v[26:27], s[0:1]
	s_delay_alu instid0(VALU_DEP_1) | instskip(SKIP_2) | instid1(VALU_DEP_1)
	v_fma_f64 v[6:7], v[6:7], s[4:5], -v[26:27]
	s_waitcnt vmcnt(0)
	v_add_nc_u32_e32 v188, s7, v24
	v_ashrrev_i32_e32 v189, 31, v188
	s_delay_alu instid0(VALU_DEP_1) | instskip(NEXT) | instid1(VALU_DEP_1)
	v_lshlrev_b64 v[24:25], 3, v[188:189]
	v_add_co_u32 v24, vcc_lo, s18, v24
	s_delay_alu instid0(VALU_DEP_2)
	v_add_co_ci_u32_e32 v25, vcc_lo, s19, v25, vcc_lo
	global_load_b64 v[8:9], v[24:25], off
	s_clause 0x1
	scratch_load_b64 v[68:69], off, off offset:156
	scratch_load_b64 v[76:77], off, off offset:148
	s_waitcnt vmcnt(1)
	v_mul_f64 v[8:9], v[68:69], v[8:9]
	s_waitcnt vmcnt(0)
	s_delay_alu instid0(VALU_DEP_1) | instskip(NEXT) | instid1(VALU_DEP_1)
	v_mul_f64 v[8:9], v[76:77], v[8:9]
	v_mul_f64 v[40:41], v[4:5], v[8:9]
	s_clause 0x2
	scratch_load_b64 v[108:109], off, off offset:248
	scratch_load_b64 v[8:9], off, off offset:240
	;; [unrolled: 1-line block ×3, first 2 shown]
	v_mul_f64 v[4:5], v[70:71], v[42:43]
	s_waitcnt vmcnt(1)
	v_mul_f64 v[8:9], v[108:109], v[8:9]
	s_waitcnt vmcnt(0)
	v_mul_f64 v[42:43], v[106:107], v[24:25]
	s_delay_alu instid0(VALU_DEP_3) | instskip(NEXT) | instid1(VALU_DEP_3)
	v_mul_f64 v[24:25], v[4:5], v[122:123]
	v_mul_f64 v[8:9], v[8:9], v[94:95]
	s_delay_alu instid0(VALU_DEP_3) | instskip(NEXT) | instid1(VALU_DEP_3)
	v_mul_f64 v[18:19], v[42:43], v[64:65]
	;; [unrolled: 3-line block ×3, first 2 shown]
	v_mul_f64 v[32:33], v[18:19], v[32:33]
	s_delay_alu instid0(VALU_DEP_3)
	v_mul_f64 v[171:172], v[98:99], v[4:5]
	v_mul_f64 v[185:186], v[100:101], v[40:41]
	;; [unrolled: 1-line block ×5, first 2 shown]
	scratch_load_b32 v32, off, off offset:92 ; 4-byte Folded Reload
	v_fma_f64 v[18:19], v[44:45], v[52:53], v[18:19]
	s_waitcnt vmcnt(0)
	v_add_nc_u32_e32 v32, s7, v32
	s_delay_alu instid0(VALU_DEP_1) | instskip(NEXT) | instid1(VALU_DEP_1)
	v_ashrrev_i32_e32 v33, 31, v32
	v_lshlrev_b64 v[40:41], 3, v[32:33]
	v_subrev_nc_u32_e32 v32, s6, v32
	s_delay_alu instid0(VALU_DEP_2) | instskip(NEXT) | instid1(VALU_DEP_3)
	v_add_co_u32 v40, vcc_lo, s18, v40
	v_add_co_ci_u32_e32 v41, vcc_lo, s19, v41, vcc_lo
	global_load_b64 v[38:39], v[40:41], off
	s_clause 0x2
	scratch_load_b64 v[66:67], off, off offset:120
	scratch_load_b64 v[60:61], off, off offset:112
	scratch_load_b32 v33, off, off offset:88
	s_waitcnt vmcnt(2)
	v_mul_f64 v[38:39], v[66:67], v[38:39]
	s_waitcnt vmcnt(0)
	v_add_nc_u32_e32 v166, s7, v33
	s_delay_alu instid0(VALU_DEP_1) | instskip(NEXT) | instid1(VALU_DEP_3)
	v_ashrrev_i32_e32 v167, 31, v166
	v_mul_f64 v[38:39], v[60:61], v[38:39]
	s_delay_alu instid0(VALU_DEP_1) | instskip(NEXT) | instid1(VALU_DEP_3)
	v_mul_f64 v[2:3], v[2:3], v[38:39]
	v_lshlrev_b64 v[38:39], 3, v[166:167]
	s_delay_alu instid0(VALU_DEP_1) | instskip(NEXT) | instid1(VALU_DEP_2)
	v_add_co_u32 v38, vcc_lo, s18, v38
	v_add_co_ci_u32_e32 v39, vcc_lo, s19, v39, vcc_lo
	global_load_b64 v[26:27], v[38:39], off
	s_clause 0x3
	scratch_load_b64 v[88:89], off, off offset:104
	scratch_load_b64 v[86:87], off, off offset:96
	scratch_load_b128 v[38:41], off, off offset:128
	scratch_load_b32 v33, off, off offset:228
	s_waitcnt vmcnt(3)
	v_mul_f64 v[26:27], v[88:89], v[26:27]
	s_waitcnt vmcnt(1)
	v_mul_f64 v[2:3], v[38:39], v[2:3]
	v_add_nc_u32_e32 v38, s6, v175
	s_delay_alu instid0(VALU_DEP_1) | instskip(NEXT) | instid1(VALU_DEP_1)
	v_ashrrev_i32_e32 v39, 31, v38
	v_lshlrev_b64 v[38:39], 3, v[38:39]
	v_mul_f64 v[26:27], v[86:87], v[26:27]
	v_mul_f64 v[2:3], v[80:81], v[2:3]
	s_delay_alu instid0(VALU_DEP_2) | instskip(SKIP_1) | instid1(VALU_DEP_1)
	v_mul_f64 v[6:7], v[6:7], v[26:27]
	v_add_nc_u32_e32 v26, s6, v160
	v_ashrrev_i32_e32 v27, 31, v26
	s_delay_alu instid0(VALU_DEP_1) | instskip(NEXT) | instid1(VALU_DEP_1)
	v_lshlrev_b64 v[26:27], 3, v[26:27]
	v_add_co_u32 v26, vcc_lo, s12, v26
	s_delay_alu instid0(VALU_DEP_2)
	v_add_co_ci_u32_e32 v27, vcc_lo, s13, v27, vcc_lo
	v_add_co_u32 v38, vcc_lo, s12, v38
	v_add_co_ci_u32_e32 v39, vcc_lo, s13, v39, vcc_lo
	v_mul_f64 v[6:7], v[40:41], v[6:7]
	s_waitcnt vmcnt(0)
	v_add_nc_u32_e32 v40, s7, v33
	v_ashrrev_i32_e32 v33, 31, v32
	s_delay_alu instid0(VALU_DEP_2) | instskip(SKIP_1) | instid1(VALU_DEP_3)
	v_ashrrev_i32_e32 v41, 31, v40
	v_subrev_nc_u32_e32 v30, s6, v40
	v_lshlrev_b64 v[32:33], 3, v[32:33]
	s_delay_alu instid0(VALU_DEP_3) | instskip(NEXT) | instid1(VALU_DEP_3)
	v_lshlrev_b64 v[41:42], 3, v[40:41]
	v_ashrrev_i32_e32 v31, 31, v30
	s_delay_alu instid0(VALU_DEP_2) | instskip(NEXT) | instid1(VALU_DEP_3)
	v_add_co_u32 v41, vcc_lo, s18, v41
	v_add_co_ci_u32_e32 v42, vcc_lo, s19, v42, vcc_lo
	global_load_b64 v[36:37], v[41:42], off
	s_clause 0x2
	scratch_load_b64 v[40:41], off, off offset:220
	scratch_load_b64 v[56:57], off, off offset:376
	;; [unrolled: 1-line block ×3, first 2 shown]
	v_lshlrev_b64 v[30:31], 3, v[30:31]
	s_delay_alu instid0(VALU_DEP_1) | instskip(NEXT) | instid1(VALU_DEP_2)
	v_add_co_u32 v30, vcc_lo, s18, v30
	v_add_co_ci_u32_e32 v31, vcc_lo, s19, v31, vcc_lo
	v_mul_f64 v[6:7], v[80:81], v[6:7]
	global_load_b64 v[30:31], v[30:31], off
	s_waitcnt vmcnt(3)
	v_mul_f64 v[36:37], v[40:41], v[36:37]
	s_waitcnt vmcnt(0)
	v_mul_f64 v[30:31], v[40:41], v[30:31]
	v_add_nc_u32_e32 v40, s6, v28
	v_add_nc_u32_e32 v28, s6, v29
	s_delay_alu instid0(VALU_DEP_2) | instskip(NEXT) | instid1(VALU_DEP_2)
	v_ashrrev_i32_e32 v41, 31, v40
	v_ashrrev_i32_e32 v29, 31, v28
	s_delay_alu instid0(VALU_DEP_2) | instskip(NEXT) | instid1(VALU_DEP_2)
	v_lshlrev_b64 v[40:41], 3, v[40:41]
	v_lshlrev_b64 v[28:29], 3, v[28:29]
	v_mul_f64 v[36:37], v[56:57], v[36:37]
	v_mul_f64 v[30:31], v[56:57], v[30:31]
	s_delay_alu instid0(VALU_DEP_2) | instskip(SKIP_1) | instid1(VALU_DEP_1)
	v_mul_f64 v[0:1], v[0:1], v[36:37]
	v_add_nc_u32_e32 v36, s6, v184
	v_ashrrev_i32_e32 v37, 31, v36
	s_delay_alu instid0(VALU_DEP_1) | instskip(NEXT) | instid1(VALU_DEP_1)
	v_lshlrev_b64 v[36:37], 3, v[36:37]
	v_add_co_u32 v36, vcc_lo, s12, v36
	s_delay_alu instid0(VALU_DEP_2)
	v_add_co_ci_u32_e32 v37, vcc_lo, s13, v37, vcc_lo
	v_add_co_u32 v40, vcc_lo, s12, v40
	v_add_co_ci_u32_e32 v41, vcc_lo, s13, v41, vcc_lo
	s_clause 0x3
	global_load_b64 v[26:27], v[26:27], off
	global_load_b64 v[38:39], v[38:39], off
	;; [unrolled: 1-line block ×4, first 2 shown]
	v_mul_f64 v[0:1], v[42:43], v[0:1]
	s_delay_alu instid0(VALU_DEP_1) | instskip(SKIP_4) | instid1(VALU_DEP_2)
	v_mul_f64 v[0:1], v[80:81], v[0:1]
	s_waitcnt vmcnt(2)
	v_add_f64 v[42:43], v[26:27], -v[38:39]
	s_waitcnt vmcnt(0)
	v_add_f64 v[56:57], v[36:37], -v[40:41]
	v_mul_f64 v[42:43], v[42:43], s[0:1]
	s_delay_alu instid0(VALU_DEP_1) | instskip(SKIP_1) | instid1(VALU_DEP_1)
	v_fma_f64 v[42:43], v[56:57], s[4:5], -v[42:43]
	v_add_nc_u32_e32 v56, s6, v178
	v_ashrrev_i32_e32 v57, 31, v56
	s_delay_alu instid0(VALU_DEP_1) | instskip(NEXT) | instid1(VALU_DEP_4)
	v_lshlrev_b64 v[56:57], 3, v[56:57]
	v_fma_f64 v[0:1], v[42:43], v[30:31], v[0:1]
	v_add_nc_u32_e32 v30, s6, v158
	v_add_nc_u32_e32 v42, s6, v165
	s_delay_alu instid0(VALU_DEP_2) | instskip(NEXT) | instid1(VALU_DEP_2)
	v_ashrrev_i32_e32 v31, 31, v30
	v_ashrrev_i32_e32 v43, 31, v42
	s_delay_alu instid0(VALU_DEP_2) | instskip(NEXT) | instid1(VALU_DEP_2)
	v_lshlrev_b64 v[30:31], 3, v[30:31]
	v_lshlrev_b64 v[42:43], 3, v[42:43]
	s_delay_alu instid0(VALU_DEP_2) | instskip(NEXT) | instid1(VALU_DEP_3)
	v_add_co_u32 v30, vcc_lo, s12, v30
	v_add_co_ci_u32_e32 v31, vcc_lo, s13, v31, vcc_lo
	v_add_co_u32 v32, vcc_lo, s18, v32
	v_add_co_ci_u32_e32 v33, vcc_lo, s19, v33, vcc_lo
	v_add_co_u32 v42, vcc_lo, s12, v42
	v_add_co_ci_u32_e32 v43, vcc_lo, s13, v43, vcc_lo
	global_load_b64 v[32:33], v[32:33], off
	v_add_co_u32 v56, vcc_lo, s12, v56
	v_add_co_ci_u32_e32 v57, vcc_lo, s13, v57, vcc_lo
	v_add_co_u32 v28, vcc_lo, s12, v28
	v_add_co_ci_u32_e32 v29, vcc_lo, s13, v29, vcc_lo
	s_clause 0x3
	global_load_b64 v[30:31], v[30:31], off
	global_load_b64 v[42:43], v[42:43], off
	;; [unrolled: 1-line block ×4, first 2 shown]
	s_waitcnt vmcnt(4)
	v_mul_f64 v[32:33], v[66:67], v[32:33]
	s_waitcnt vmcnt(3)
	v_add_f64 v[26:27], v[26:27], -v[30:31]
	s_waitcnt vmcnt(2)
	v_add_f64 v[38:39], v[38:39], -v[42:43]
	;; [unrolled: 2-line block ×4, first 2 shown]
	v_add_nc_u32_e32 v56, s6, v142
	v_add_f64 v[28:29], v[40:41], -v[28:29]
	s_delay_alu instid0(VALU_DEP_2) | instskip(NEXT) | instid1(VALU_DEP_1)
	v_ashrrev_i32_e32 v57, 31, v56
	v_lshlrev_b64 v[56:57], 3, v[56:57]
	v_mul_f64 v[32:33], v[60:61], v[32:33]
	v_add_f64 v[60:61], v[30:31], -v[42:43]
	v_mul_f64 v[26:27], v[26:27], s[0:1]
	v_mul_f64 v[38:39], v[38:39], s[0:1]
	;; [unrolled: 1-line block ×5, first 2 shown]
	s_delay_alu instid0(VALU_DEP_1) | instskip(SKIP_1) | instid1(VALU_DEP_1)
	v_fma_f64 v[60:61], v[66:67], s[4:5], -v[60:61]
	v_add_nc_u32_e32 v66, s6, v140
	v_ashrrev_i32_e32 v67, 31, v66
	s_delay_alu instid0(VALU_DEP_1) | instskip(NEXT) | instid1(VALU_DEP_4)
	v_lshlrev_b64 v[66:67], 3, v[66:67]
	v_fma_f64 v[2:3], v[60:61], v[32:33], v[2:3]
	v_add_nc_u32_e32 v32, s6, v156
	v_subrev_nc_u32_e32 v60, s6, v188
	s_delay_alu instid0(VALU_DEP_2) | instskip(NEXT) | instid1(VALU_DEP_2)
	v_ashrrev_i32_e32 v33, 31, v32
	v_ashrrev_i32_e32 v61, 31, v60
	s_delay_alu instid0(VALU_DEP_2) | instskip(NEXT) | instid1(VALU_DEP_2)
	v_lshlrev_b64 v[32:33], 3, v[32:33]
	v_lshlrev_b64 v[60:61], 3, v[60:61]
	s_delay_alu instid0(VALU_DEP_2) | instskip(NEXT) | instid1(VALU_DEP_3)
	v_add_co_u32 v32, vcc_lo, s12, v32
	v_add_co_ci_u32_e32 v33, vcc_lo, s13, v33, vcc_lo
	s_delay_alu instid0(VALU_DEP_3) | instskip(NEXT) | instid1(VALU_DEP_4)
	v_add_co_u32 v60, vcc_lo, s18, v60
	v_add_co_ci_u32_e32 v61, vcc_lo, s19, v61, vcc_lo
	v_add_co_u32 v66, vcc_lo, s12, v66
	v_add_co_ci_u32_e32 v67, vcc_lo, s13, v67, vcc_lo
	global_load_b64 v[60:61], v[60:61], off
	v_add_f64 v[0:1], v[0:1], -v[2:3]
	s_delay_alu instid0(VALU_DEP_1) | instskip(SKIP_3) | instid1(VALU_DEP_1)
	v_mul_f64 v[0:1], v[0:1], s[0:1]
	s_waitcnt vmcnt(0)
	v_mul_f64 v[60:61], v[68:69], v[60:61]
	v_add_nc_u32_e32 v68, s6, v154
	v_ashrrev_i32_e32 v69, 31, v68
	s_delay_alu instid0(VALU_DEP_1) | instskip(NEXT) | instid1(VALU_DEP_1)
	v_lshlrev_b64 v[68:69], 3, v[68:69]
	v_add_co_u32 v68, vcc_lo, s12, v68
	s_delay_alu instid0(VALU_DEP_2)
	v_add_co_ci_u32_e32 v69, vcc_lo, s13, v69, vcc_lo
	v_add_co_u32 v72, vcc_lo, s12, v72
	v_add_co_ci_u32_e32 v73, vcc_lo, s13, v73, vcc_lo
	s_clause 0x3
	global_load_b64 v[32:33], v[32:33], off
	global_load_b64 v[66:67], v[66:67], off
	;; [unrolled: 1-line block ×4, first 2 shown]
	v_mul_f64 v[60:61], v[76:77], v[60:61]
	s_waitcnt vmcnt(2)
	v_add_f64 v[76:77], v[32:33], -v[66:67]
	s_waitcnt vmcnt(0)
	v_add_f64 v[82:83], v[68:69], -v[72:73]
	s_delay_alu instid0(VALU_DEP_2) | instskip(NEXT) | instid1(VALU_DEP_1)
	v_mul_f64 v[76:77], v[76:77], s[0:1]
	v_fma_f64 v[76:77], v[82:83], s[4:5], -v[76:77]
	v_mul_f64 v[82:83], v[80:81], v[185:186]
	s_delay_alu instid0(VALU_DEP_1)
	v_fma_f64 v[92:93], v[76:77], v[60:61], v[82:83]
	v_add_nc_u32_e32 v60, s6, v16
	s_clause 0x1
	scratch_load_b64 v[76:77], off, off offset:212
	scratch_load_b64 v[82:83], off, off offset:280
	v_add_nc_u32_e32 v16, s6, v17
	v_ashrrev_i32_e32 v61, 31, v60
	s_delay_alu instid0(VALU_DEP_2) | instskip(NEXT) | instid1(VALU_DEP_2)
	v_ashrrev_i32_e32 v17, 31, v16
	v_lshlrev_b64 v[60:61], 3, v[60:61]
	s_delay_alu instid0(VALU_DEP_2) | instskip(NEXT) | instid1(VALU_DEP_2)
	v_lshlrev_b64 v[16:17], 3, v[16:17]
	v_add_co_u32 v60, vcc_lo, s12, v60
	s_delay_alu instid0(VALU_DEP_3) | instskip(NEXT) | instid1(VALU_DEP_3)
	v_add_co_ci_u32_e32 v61, vcc_lo, s13, v61, vcc_lo
	v_add_co_u32 v16, vcc_lo, s12, v16
	s_delay_alu instid0(VALU_DEP_4)
	v_add_co_ci_u32_e32 v17, vcc_lo, s13, v17, vcc_lo
	global_load_b64 v[30:31], v[60:61], off
	s_waitcnt vmcnt(1)
	v_mul_f64 v[76:77], v[76:77], v[82:83]
	s_waitcnt vmcnt(0)
	v_add_f64 v[32:33], v[32:33], -v[30:31]
	s_delay_alu instid0(VALU_DEP_1) | instskip(NEXT) | instid1(VALU_DEP_3)
	v_fma_f64 v[26:27], v[32:33], s[4:5], -v[26:27]
	v_mul_f64 v[32:33], v[76:77], v[122:123]
	s_delay_alu instid0(VALU_DEP_1)
	v_mul_f64 v[26:27], v[32:33], v[26:27]
	s_clause 0x1
	scratch_load_b64 v[32:33], off, off offset:180
	scratch_load_b64 v[60:61], off, off offset:188
	global_load_b64 v[16:17], v[16:17], off
	v_fma_f64 v[26:27], v[80:81], v[171:172], v[26:27]
	s_waitcnt vmcnt(1)
	v_mul_f64 v[32:33], v[32:33], v[60:61]
	s_waitcnt vmcnt(0)
	v_add_f64 v[42:43], v[66:67], -v[16:17]
	v_add_f64 v[16:17], v[30:31], -v[16:17]
	s_delay_alu instid0(VALU_DEP_3) | instskip(NEXT) | instid1(VALU_DEP_3)
	v_mul_f64 v[32:33], v[32:33], v[94:95]
	v_fma_f64 v[38:39], v[42:43], s[4:5], -v[38:39]
	s_delay_alu instid0(VALU_DEP_3) | instskip(NEXT) | instid1(VALU_DEP_2)
	v_mul_f64 v[16:17], v[16:17], s[0:1]
	v_mul_f64 v[32:33], v[32:33], v[38:39]
	s_clause 0x1
	scratch_load_b64 v[38:39], off, off offset:196
	scratch_load_b64 v[42:43], off, off offset:204
	v_fma_f64 v[30:31], v[80:81], v[173:174], v[32:33]
	s_waitcnt vmcnt(0)
	v_mul_f64 v[38:39], v[38:39], v[42:43]
	v_add_nc_u32_e32 v42, s6, v141
	s_delay_alu instid0(VALU_DEP_1) | instskip(NEXT) | instid1(VALU_DEP_1)
	v_ashrrev_i32_e32 v43, 31, v42
	v_lshlrev_b64 v[42:43], 3, v[42:43]
	s_delay_alu instid0(VALU_DEP_1) | instskip(NEXT) | instid1(VALU_DEP_2)
	v_add_co_u32 v42, vcc_lo, s12, v42
	v_add_co_ci_u32_e32 v43, vcc_lo, s13, v43, vcc_lo
	v_add_co_u32 v56, vcc_lo, s12, v56
	v_add_co_ci_u32_e32 v57, vcc_lo, s13, v57, vcc_lo
	global_load_b64 v[42:43], v[42:43], off
	v_mul_f64 v[38:39], v[38:39], v[112:113]
	s_waitcnt vmcnt(0)
	v_add_f64 v[60:61], v[68:69], -v[42:43]
	s_delay_alu instid0(VALU_DEP_1)
	v_fma_f64 v[36:37], v[60:61], s[4:5], -v[36:37]
	s_clause 0x1
	scratch_load_b64 v[60:61], off, off offset:164
	scratch_load_b64 v[66:67], off, off offset:172
	global_load_b64 v[40:41], v[56:57], off
	v_mul_f64 v[36:37], v[38:39], v[36:37]
	v_subrev_nc_u32_e32 v38, s6, v166
	s_delay_alu instid0(VALU_DEP_1) | instskip(NEXT) | instid1(VALU_DEP_1)
	v_ashrrev_i32_e32 v39, 31, v38
	v_lshlrev_b64 v[38:39], 3, v[38:39]
	s_delay_alu instid0(VALU_DEP_1) | instskip(NEXT) | instid1(VALU_DEP_2)
	v_add_co_u32 v38, vcc_lo, s18, v38
	v_add_co_ci_u32_e32 v39, vcc_lo, s19, v39, vcc_lo
	global_load_b64 v[38:39], v[38:39], off
	v_fma_f64 v[36:37], v[80:81], v[138:139], v[36:37]
	s_waitcnt vmcnt(2)
	v_mul_f64 v[60:61], v[60:61], v[66:67]
	s_waitcnt vmcnt(1)
	v_add_f64 v[56:57], v[72:73], -v[40:41]
	v_add_f64 v[32:33], v[42:43], -v[40:41]
	v_mul_f64 v[40:41], v[124:125], s[0:1]
	v_mul_f64 v[42:43], v[148:149], s[0:1]
	s_delay_alu instid0(VALU_DEP_4)
	v_fma_f64 v[28:29], v[56:57], s[4:5], -v[28:29]
	v_mul_f64 v[56:57], v[60:61], v[64:65]
	v_fma_f64 v[16:17], v[32:33], s[4:5], -v[16:17]
	v_fma_f64 v[40:41], v[58:59], s[4:5], -v[40:41]
	;; [unrolled: 1-line block ×3, first 2 shown]
	v_mul_f64 v[58:59], v[102:103], s[0:1]
	s_waitcnt vmcnt(0)
	v_mul_f64 v[38:39], v[88:89], v[38:39]
	v_mul_f64 v[28:29], v[56:57], v[28:29]
	;; [unrolled: 1-line block ×3, first 2 shown]
	s_delay_alu instid0(VALU_DEP_4) | instskip(SKIP_1) | instid1(VALU_DEP_4)
	v_fma_f64 v[22:23], v[22:23], s[4:5], -v[58:59]
	v_mul_f64 v[58:59], v[116:117], s[0:1]
	v_fma_f64 v[4:5], v[80:81], v[4:5], v[28:29]
	v_mul_f64 v[28:29], v[86:87], v[38:39]
	v_mul_f64 v[38:39], v[152:153], s[0:1]
	s_delay_alu instid0(VALU_DEP_4) | instskip(NEXT) | instid1(VALU_DEP_4)
	v_fma_f64 v[58:59], v[78:79], s[4:5], -v[58:59]
	v_add_f64 v[4:5], v[36:37], -v[4:5]
	s_delay_alu instid0(VALU_DEP_4)
	v_fma_f64 v[6:7], v[16:17], v[28:29], v[6:7]
	s_clause 0x1
	scratch_load_b64 v[28:29], off, off offset:60
	scratch_load_b64 v[32:33], off, off offset:72
	v_mul_f64 v[16:17], v[130:131], s[0:1]
	v_fma_f64 v[38:39], v[146:147], s[4:5], -v[38:39]
	s_clause 0x1
	scratch_load_b64 v[56:57], off, off offset:52
	scratch_load_b64 v[48:49], off, off offset:36
	v_add_f64 v[2:3], v[92:93], -v[6:7]
	v_fma_f64 v[16:17], v[62:63], s[4:5], -v[16:17]
	s_delay_alu instid0(VALU_DEP_2)
	v_fma_f64 v[0:1], v[2:3], s[4:5], -v[0:1]
	scratch_load_b64 v[2:3], off, off       ; 8-byte Folded Reload
	v_mul_f64 v[16:17], v[24:25], v[16:17]
	scratch_load_b64 v[24:25], off, off offset:80 ; 8-byte Folded Reload
	v_fma_f64 v[16:17], v[44:45], v[90:91], v[16:17]
	s_waitcnt vmcnt(4)
	v_fma_f64 v[28:29], v[44:45], v[32:33], v[28:29]
	v_mul_f64 v[32:33], v[128:129], s[0:1]
	s_waitcnt vmcnt(3)
	v_mul_f64 v[56:57], v[110:111], v[56:57]
	s_waitcnt vmcnt(2)
	v_mul_f64 v[48:49], v[106:107], v[48:49]
	s_delay_alu instid0(VALU_DEP_4) | instskip(NEXT) | instid1(VALU_DEP_4)
	v_add_f64 v[28:29], v[28:29], v[58:59]
	v_fma_f64 v[32:33], v[126:127], s[4:5], -v[32:33]
	s_delay_alu instid0(VALU_DEP_4) | instskip(NEXT) | instid1(VALU_DEP_4)
	v_mul_f64 v[56:57], v[56:57], v[112:113]
	v_mul_f64 v[48:49], v[48:49], v[64:65]
	s_waitcnt vmcnt(1)
	v_add_co_u32 v2, vcc_lo, s2, v2
	s_delay_alu instid0(VALU_DEP_4)
	v_mul_f64 v[8:9], v[8:9], v[32:33]
	scratch_load_b64 v[32:33], off, off offset:44 ; 8-byte Folded Reload
	s_waitcnt vmcnt(1)
	v_mul_f64 v[24:25], v[70:71], v[24:25]
	v_add_co_ci_u32_e32 v3, vcc_lo, s3, v3, vcc_lo
	v_mul_f64 v[22:23], v[48:49], v[22:23]
	v_fma_f64 v[8:9], v[44:45], v[46:47], v[8:9]
	s_delay_alu instid0(VALU_DEP_4) | instskip(NEXT) | instid1(VALU_DEP_3)
	v_mul_f64 v[24:25], v[24:25], v[122:123]
	v_fma_f64 v[18:19], v[44:45], v[22:23], v[18:19]
	v_mul_f64 v[22:23], v[34:35], s[0:1]
	s_delay_alu instid0(VALU_DEP_3) | instskip(SKIP_2) | instid1(VALU_DEP_4)
	v_mul_f64 v[24:25], v[24:25], v[38:39]
	v_fma_f64 v[38:39], v[44:45], v[54:55], v[40:41]
	v_mul_f64 v[40:41], v[56:57], v[50:51]
	v_fma_f64 v[22:23], v[84:85], s[4:5], -v[22:23]
	s_delay_alu instid0(VALU_DEP_4) | instskip(NEXT) | instid1(VALU_DEP_3)
	v_fma_f64 v[16:17], v[44:45], v[24:25], v[16:17]
	v_fma_f64 v[24:25], v[44:45], v[40:41], v[38:39]
	s_waitcnt vmcnt(0)
	v_mul_f64 v[32:33], v[108:109], v[32:33]
	s_delay_alu instid0(VALU_DEP_1) | instskip(NEXT) | instid1(VALU_DEP_1)
	v_mul_f64 v[32:33], v[32:33], v[94:95]
	v_mul_f64 v[32:33], v[32:33], v[42:43]
	s_delay_alu instid0(VALU_DEP_1) | instskip(NEXT) | instid1(VALU_DEP_1)
	v_fma_f64 v[8:9], v[44:45], v[32:33], v[8:9]
	v_add_f64 v[8:9], v[16:17], -v[8:9]
	v_add_f64 v[16:17], v[24:25], -v[18:19]
	v_add_f64 v[18:19], v[22:23], v[28:29]
	s_delay_alu instid0(VALU_DEP_3) | instskip(NEXT) | instid1(VALU_DEP_1)
	v_mul_f64 v[8:9], v[8:9], s[0:1]
	v_fma_f64 v[8:9], v[16:17], s[4:5], -v[8:9]
	s_delay_alu instid0(VALU_DEP_1) | instskip(NEXT) | instid1(VALU_DEP_1)
	v_add_f64 v[8:9], v[18:19], v[8:9]
	v_fma_f64 v[8:9], v[44:45], v[10:11], v[8:9]
	v_add_f64 v[10:11], v[26:27], -v[30:31]
	s_delay_alu instid0(VALU_DEP_1) | instskip(NEXT) | instid1(VALU_DEP_1)
	v_mul_f64 v[10:11], v[10:11], s[0:1]
	v_fma_f64 v[4:5], v[4:5], s[4:5], -v[10:11]
	s_delay_alu instid0(VALU_DEP_1) | instskip(NEXT) | instid1(VALU_DEP_1)
	v_add_f64 v[4:5], v[8:9], v[4:5]
	v_add_f64 v[0:1], v[4:5], v[0:1]
	global_load_b64 v[4:5], v[2:3], off
	s_clause 0x2
	scratch_load_b64 v[6:7], off, off offset:8
	scratch_load_b64 v[8:9], off, off offset:16
	;; [unrolled: 1-line block ×3, first 2 shown]
	v_mul_f64 v[0:1], v[0:1], s[10:11]
	s_waitcnt vmcnt(0)
	v_div_fixup_f64 v[6:7], v[8:9], v[10:11], v[6:7]
	s_delay_alu instid0(VALU_DEP_1) | instskip(NEXT) | instid1(VALU_DEP_1)
	v_mul_f64 v[0:1], v[6:7], v[0:1]
	v_fma_f64 v[0:1], v[4:5], s[8:9], v[0:1]
	global_store_b64 v[2:3], v[0:1], off
.LBB1_2:
	s_endpgm
	.section	.rodata,"a",@progbits
	.p2align	6, 0x0
	.amdhsa_kernel _Z7kernel2iiiiiiiiiiiiddPKdS0_S0_S0_S0_PdS0_S0_S0_S0_S0_S0_S0_
		.amdhsa_group_segment_fixed_size 0
		.amdhsa_private_segment_fixed_size 404
		.amdhsa_kernarg_size 424
		.amdhsa_user_sgpr_count 13
		.amdhsa_user_sgpr_dispatch_ptr 0
		.amdhsa_user_sgpr_queue_ptr 0
		.amdhsa_user_sgpr_kernarg_segment_ptr 1
		.amdhsa_user_sgpr_dispatch_id 0
		.amdhsa_user_sgpr_private_segment_size 0
		.amdhsa_wavefront_size32 1
		.amdhsa_uses_dynamic_stack 0
		.amdhsa_enable_private_segment 1
		.amdhsa_system_sgpr_workgroup_id_x 1
		.amdhsa_system_sgpr_workgroup_id_y 1
		.amdhsa_system_sgpr_workgroup_id_z 1
		.amdhsa_system_sgpr_workgroup_info 0
		.amdhsa_system_vgpr_workitem_id 2
		.amdhsa_next_free_vgpr 192
		.amdhsa_next_free_sgpr 28
		.amdhsa_reserve_vcc 1
		.amdhsa_float_round_mode_32 0
		.amdhsa_float_round_mode_16_64 0
		.amdhsa_float_denorm_mode_32 3
		.amdhsa_float_denorm_mode_16_64 3
		.amdhsa_dx10_clamp 1
		.amdhsa_ieee_mode 1
		.amdhsa_fp16_overflow 0
		.amdhsa_workgroup_processor_mode 1
		.amdhsa_memory_ordered 1
		.amdhsa_forward_progress 0
		.amdhsa_shared_vgpr_count 0
		.amdhsa_exception_fp_ieee_invalid_op 0
		.amdhsa_exception_fp_denorm_src 0
		.amdhsa_exception_fp_ieee_div_zero 0
		.amdhsa_exception_fp_ieee_overflow 0
		.amdhsa_exception_fp_ieee_underflow 0
		.amdhsa_exception_fp_ieee_inexact 0
		.amdhsa_exception_int_div_zero 0
	.end_amdhsa_kernel
	.text
.Lfunc_end1:
	.size	_Z7kernel2iiiiiiiiiiiiddPKdS0_S0_S0_S0_PdS0_S0_S0_S0_S0_S0_S0_, .Lfunc_end1-_Z7kernel2iiiiiiiiiiiiddPKdS0_S0_S0_S0_PdS0_S0_S0_S0_S0_S0_S0_
                                        ; -- End function
	.section	.AMDGPU.csdata,"",@progbits
; Kernel info:
; codeLenInByte = 12960
; NumSgprs: 30
; NumVgprs: 192
; ScratchSize: 404
; MemoryBound: 0
; FloatMode: 240
; IeeeMode: 1
; LDSByteSize: 0 bytes/workgroup (compile time only)
; SGPRBlocks: 3
; VGPRBlocks: 23
; NumSGPRsForWavesPerEU: 30
; NumVGPRsForWavesPerEU: 192
; Occupancy: 8
; WaveLimiterHint : 0
; COMPUTE_PGM_RSRC2:SCRATCH_EN: 1
; COMPUTE_PGM_RSRC2:USER_SGPR: 13
; COMPUTE_PGM_RSRC2:TRAP_HANDLER: 0
; COMPUTE_PGM_RSRC2:TGID_X_EN: 1
; COMPUTE_PGM_RSRC2:TGID_Y_EN: 1
; COMPUTE_PGM_RSRC2:TGID_Z_EN: 1
; COMPUTE_PGM_RSRC2:TIDIG_COMP_CNT: 2
	.text
	.protected	_Z7kernel3iiiiiiiiiiiiddPKdS0_S0_S0_S0_PdS0_S0_S0_S0_S0_S0_S0_ ; -- Begin function _Z7kernel3iiiiiiiiiiiiddPKdS0_S0_S0_S0_PdS0_S0_S0_S0_S0_S0_S0_
	.globl	_Z7kernel3iiiiiiiiiiiiddPKdS0_S0_S0_S0_PdS0_S0_S0_S0_S0_S0_S0_
	.p2align	8
	.type	_Z7kernel3iiiiiiiiiiiiddPKdS0_S0_S0_S0_PdS0_S0_S0_S0_S0_S0_S0_,@function
_Z7kernel3iiiiiiiiiiiiddPKdS0_S0_S0_S0_PdS0_S0_S0_S0_S0_S0_S0_: ; @_Z7kernel3iiiiiiiiiiiiddPKdS0_S0_S0_S0_PdS0_S0_S0_S0_S0_S0_S0_
; %bb.0:
	s_clause 0x1
	s_load_b64 s[2:3], s[0:1], 0xb4
	s_load_b256 s[16:23], s[0:1], 0x0
	v_and_b32_e32 v1, 0x3ff, v0
	v_bfe_u32 v2, v0, 10, 10
	v_bfe_u32 v0, v0, 20, 10
	s_waitcnt lgkmcnt(0)
	s_and_b32 s4, s2, 0xffff
	s_lshr_b32 s2, s2, 16
	s_and_b32 s3, s3, 0xffff
	s_mul_i32 s13, s13, s4
	s_mul_i32 s14, s14, s2
	;; [unrolled: 1-line block ×3, first 2 shown]
	v_add3_u32 v120, s13, s16, v1
	v_add3_u32 v64, s14, s18, v2
	;; [unrolled: 1-line block ×3, first 2 shown]
	s_delay_alu instid0(VALU_DEP_3) | instskip(NEXT) | instid1(VALU_DEP_3)
	v_cmp_gt_i32_e32 vcc_lo, s17, v120
	v_cmp_gt_i32_e64 s2, s19, v64
	s_delay_alu instid0(VALU_DEP_3) | instskip(NEXT) | instid1(VALU_DEP_2)
	v_cmp_gt_i32_e64 s3, s21, v0
	s_and_b32 s2, vcc_lo, s2
	s_delay_alu instid0(VALU_DEP_1) | instid1(SALU_CYCLE_1)
	s_and_b32 s2, s2, s3
	s_delay_alu instid0(SALU_CYCLE_1)
	s_and_saveexec_b32 s3, s2
	s_cbranch_execz .LBB2_2
; %bb.1:
	s_load_b256 s[4:11], s[0:1], 0x20
	s_sub_i32 s2, s23, s22
	v_add_nc_u32_e32 v1, -2, v0
	s_add_i32 s3, s2, 1
	s_not_b32 s2, s2
	v_mul_lo_u32 v7, v64, s3
	s_clause 0x1
	s_load_b256 s[12:19], s[0:1], 0x40
	s_load_b128 s[24:27], s[0:1], 0x98
	v_add_nc_u32_e32 v94, -1, v120
	s_waitcnt lgkmcnt(0)
	s_sub_i32 s5, s5, s4
	s_mul_i32 s2, s2, s4
	s_add_i32 s20, s5, 1
	s_delay_alu instid0(SALU_CYCLE_1) | instskip(NEXT) | instid1(SALU_CYCLE_1)
	s_mul_i32 s20, s20, s3
	s_mul_i32 s5, s20, s6
	v_mul_lo_u32 v4, v1, s20
	s_add_i32 s5, s5, s22
	v_mul_lo_u32 v38, v0, s20
	s_sub_i32 s23, s2, s5
	s_delay_alu instid0(SALU_CYCLE_1) | instskip(NEXT) | instid1(VALU_DEP_3)
	v_add_nc_u32_e32 v112, s23, v120
	v_dual_mov_b32 v14, v4 :: v_dual_add_nc_u32 v1, s20, v4
	s_delay_alu instid0(VALU_DEP_2) | instskip(NEXT) | instid1(VALU_DEP_1)
	v_add_nc_u32_e32 v88, v7, v112
	v_add_nc_u32_e32 v2, v4, v88
	s_delay_alu instid0(VALU_DEP_3) | instskip(NEXT) | instid1(VALU_DEP_2)
	v_add_nc_u32_e32 v4, v1, v88
	v_ashrrev_i32_e32 v3, 31, v2
	s_delay_alu instid0(VALU_DEP_2) | instskip(NEXT) | instid1(VALU_DEP_2)
	v_ashrrev_i32_e32 v5, 31, v4
	v_lshlrev_b64 v[2:3], 3, v[2:3]
	s_delay_alu instid0(VALU_DEP_2) | instskip(NEXT) | instid1(VALU_DEP_2)
	v_lshlrev_b64 v[4:5], 3, v[4:5]
	v_add_co_u32 v10, vcc_lo, s14, v2
	v_add_co_u32 v2, s2, s16, v2
	s_delay_alu instid0(VALU_DEP_4)
	v_add_co_ci_u32_e32 v11, vcc_lo, s15, v3, vcc_lo
	v_add_co_ci_u32_e64 v3, vcc_lo, s17, v3, s2
	v_add_co_u32 v12, vcc_lo, s14, v4
	v_add_co_ci_u32_e32 v13, vcc_lo, s15, v5, vcc_lo
	v_add_co_u32 v16, vcc_lo, s16, v4
	s_sub_i32 s2, s7, s6
	v_add_co_ci_u32_e32 v17, vcc_lo, s17, v5, vcc_lo
	v_lshl_add_u32 v5, s20, 1, v1
	s_add_i32 s6, s2, 1
	s_delay_alu instid0(SALU_CYCLE_1) | instskip(NEXT) | instid1(SALU_CYCLE_1)
	s_mul_i32 s6, s6, s20
	s_sub_i32 s5, s23, s6
	s_delay_alu instid0(SALU_CYCLE_1)
	v_dual_mov_b32 v6, v1 :: v_dual_add_nc_u32 v113, s5, v120
	v_mov_b32_e32 v1, v5
	scratch_store_b32 off, v14, off offset:92 ; 4-byte Folded Spill
	s_lshl_b32 s21, s6, 1
	scratch_store_b32 off, v6, off offset:64 ; 4-byte Folded Spill
	v_dual_mov_b32 v39, v1 :: v_dual_add_nc_u32 v122, v7, v113
	v_add_nc_u32_e32 v4, v5, v88
	v_add_nc_u32_e32 v8, v88, v38
	s_mul_i32 s7, s6, 3
	s_delay_alu instid0(VALU_DEP_3)
	v_add_nc_u32_e32 v121, v1, v122
	v_add_nc_u32_e32 v0, v14, v122
	v_ashrrev_i32_e32 v5, 31, v4
	v_ashrrev_i32_e32 v9, 31, v8
	v_add_nc_u32_e32 v1, v6, v122
	v_add_nc_u32_e32 v89, v122, v38
	s_delay_alu instid0(VALU_DEP_4) | instskip(NEXT) | instid1(VALU_DEP_4)
	v_lshlrev_b64 v[4:5], 3, v[4:5]
	v_lshlrev_b64 v[96:97], 3, v[8:9]
	s_delay_alu instid0(VALU_DEP_4) | instskip(NEXT) | instid1(VALU_DEP_4)
	v_add_nc_u32_e32 v84, s6, v1
	v_add_nc_u32_e32 v32, s6, v89
	s_delay_alu instid0(VALU_DEP_4)
	v_add_co_u32 v18, vcc_lo, s14, v4
	v_add_co_ci_u32_e32 v19, vcc_lo, s15, v5, vcc_lo
	v_add_co_u32 v20, vcc_lo, s16, v4
	v_add_co_ci_u32_e32 v21, vcc_lo, s17, v5, vcc_lo
	;; [unrolled: 2-line block ×4, first 2 shown]
	global_load_b64 v[50:51], v[8:9], off
	global_load_b64 v[8:9], v[22:23], off
	scratch_store_b32 off, v39, off offset:152 ; 4-byte Folded Spill
	global_load_b64 v[52:53], v[10:11], off
	global_load_b64 v[118:119], v[2:3], off
	;; [unrolled: 1-line block ×6, first 2 shown]
	v_add_nc_u32_e32 v22, s21, v121
	v_add_nc_u32_e32 v24, s21, v0
	;; [unrolled: 1-line block ×5, first 2 shown]
	v_ashrrev_i32_e32 v23, 31, v22
	v_ashrrev_i32_e32 v25, 31, v24
	;; [unrolled: 1-line block ×3, first 2 shown]
	v_add_nc_u32_e32 v33, s6, v22
	v_ashrrev_i32_e32 v31, 31, v30
	v_lshlrev_b64 v[144:145], 3, v[22:23]
	v_lshlrev_b64 v[128:129], 3, v[24:25]
	;; [unrolled: 1-line block ×3, first 2 shown]
	v_add_nc_u32_e32 v22, s6, v24
	v_add_nc_u32_e32 v24, s6, v26
	v_ashrrev_i32_e32 v34, 31, v33
	v_add_co_u32 v2, vcc_lo, s18, v144
	v_add_co_ci_u32_e32 v3, vcc_lo, s19, v145, vcc_lo
	v_add_co_u32 v10, vcc_lo, s18, v128
	v_add_co_ci_u32_e32 v11, vcc_lo, s19, v129, vcc_lo
	v_lshlrev_b64 v[14:15], 3, v[30:31]
	v_add_co_u32 v12, vcc_lo, s18, v116
	v_add_co_ci_u32_e32 v13, vcc_lo, s19, v117, vcc_lo
	v_ashrrev_i32_e32 v25, 31, v24
	v_lshlrev_b64 v[26:27], 3, v[33:34]
	v_ashrrev_i32_e32 v23, 31, v22
	global_load_b64 v[130:131], v[2:3], off
	v_ashrrev_i32_e32 v33, 31, v32
	v_lshlrev_b64 v[172:173], 3, v[24:25]
	v_ashrrev_i32_e32 v85, 31, v84
	v_lshlrev_b64 v[110:111], 3, v[22:23]
	v_add_nc_u32_e32 v39, s20, v39
	scratch_store_b64 off, v[26:27], off offset:32 ; 8-byte Folded Spill
	s_waitcnt vmcnt(2)
	v_mov_b32_e32 v159, v79
	v_ashrrev_i32_e32 v29, 31, v28
	v_mov_b32_e32 v158, v78
	s_delay_alu instid0(VALU_DEP_2) | instskip(NEXT) | instid1(VALU_DEP_1)
	v_lshlrev_b64 v[142:143], 3, v[28:29]
	v_add_co_u32 v4, vcc_lo, s18, v142
	s_delay_alu instid0(VALU_DEP_2) | instskip(SKIP_4) | instid1(VALU_DEP_3)
	v_add_co_ci_u32_e32 v5, vcc_lo, s19, v143, vcc_lo
	v_add_co_u32 v16, vcc_lo, s18, v14
	v_add_co_ci_u32_e32 v17, vcc_lo, s19, v15, vcc_lo
	v_add_co_u32 v2, vcc_lo, s18, v26
	v_add_co_ci_u32_e32 v3, vcc_lo, s19, v27, vcc_lo
	v_dual_mov_b32 v21, v17 :: v_dual_mov_b32 v20, v16
	v_add_co_u32 v16, vcc_lo, s18, v172
	v_add_co_ci_u32_e32 v17, vcc_lo, s19, v173, vcc_lo
	v_add_co_u32 v18, vcc_lo, s18, v110
	s_clause 0x1
	scratch_store_b64 off, v[4:5], off offset:236
	scratch_store_b64 off, v[20:21], off offset:228
	v_add_co_ci_u32_e32 v19, vcc_lo, s19, v111, vcc_lo
	s_clause 0x6
	global_load_b64 v[108:109], v[10:11], off
	global_load_b64 v[182:183], v[12:13], off
	;; [unrolled: 1-line block ×5, first 2 shown]
	global_load_b128 v[70:73], v[20:21], off
	global_load_b128 v[104:107], v[4:5], off
	v_add_f64 v[2:3], v[50:51], v[8:9]
	v_add_f64 v[4:5], v[52:53], v[118:119]
	;; [unrolled: 1-line block ×3, first 2 shown]
	v_add3_u32 v27, v38, v7, s23
	s_clause 0x1
	scratch_store_b64 off, v[2:3], off offset:40
	scratch_store_b64 off, v[4:5], off offset:48
	s_waitcnt vmcnt(5)
	v_mul_f64 v[12:13], v[10:11], v[182:183]
	s_waitcnt vmcnt(1)
	v_mul_f64 v[2:3], v[2:3], v[70:71]
	s_delay_alu instid0(VALU_DEP_2) | instskip(SKIP_1) | instid1(VALU_DEP_2)
	v_mul_f64 v[176:177], v[12:13], v[152:153]
	s_waitcnt vmcnt(0)
	v_mul_f64 v[46:47], v[2:3], v[104:105]
	v_add_f64 v[2:3], v[78:79], v[190:191]
	s_delay_alu instid0(VALU_DEP_2) | instskip(NEXT) | instid1(VALU_DEP_2)
	v_fma_f64 v[16:17], v[12:13], v[152:153], v[46:47]
	v_mul_f64 v[40:41], v[2:3], v[130:131]
	scratch_store_b64 off, v[2:3], off offset:332 ; 8-byte Folded Spill
	v_mul_f64 v[2:3], v[4:5], v[108:109]
	v_lshlrev_b64 v[4:5], 3, v[84:85]
	scratch_store_b64 off, v[10:11], off offset:196 ; 8-byte Folded Spill
	v_add_nc_u32_e32 v85, s6, v0
	scratch_store_b64 off, v[4:5], off offset:316 ; 8-byte Folded Spill
	v_ashrrev_i32_e32 v86, 31, v85
	s_delay_alu instid0(VALU_DEP_1) | instskip(SKIP_2) | instid1(VALU_DEP_2)
	v_lshlrev_b64 v[0:1], 3, v[85:86]
	v_mul_f64 v[48:49], v[40:41], v[156:157]
	v_fma_f64 v[40:41], v[40:41], v[156:157], v[46:47]
	v_fma_f64 v[18:19], v[2:3], v[174:175], v[48:49]
	;; [unrolled: 1-line block ×3, first 2 shown]
	s_delay_alu instid0(VALU_DEP_2) | instskip(SKIP_1) | instid1(VALU_DEP_3)
	v_fma_f64 v[16:17], 0x40080000, v[16:17], v[18:19]
	v_lshlrev_b64 v[18:19], 3, v[32:33]
	v_fma_f64 v[2:3], 0xbfe80000, v[2:3], v[176:177]
	v_add_nc_u32_e32 v32, 1, v120
	s_delay_alu instid0(VALU_DEP_3) | instskip(NEXT) | instid1(VALU_DEP_4)
	v_add_co_u32 v20, vcc_lo, s12, v18
	v_add_co_ci_u32_e32 v21, vcc_lo, s13, v19, vcc_lo
	v_add_co_u32 v154, vcc_lo, s12, v4
	v_add_co_ci_u32_e32 v155, vcc_lo, s13, v5, vcc_lo
	s_clause 0x1
	global_load_b64 v[90:91], v[20:21], off
	global_load_b128 v[20:23], v[154:155], off
	v_add_co_u32 v146, vcc_lo, s12, v0
	v_add_co_ci_u32_e32 v147, vcc_lo, s13, v1, vcc_lo
	v_ashrrev_i32_e32 v4, 31, v120
	scratch_store_b64 off, v[0:1], off offset:324 ; 8-byte Folded Spill
	v_ashrrev_i32_e32 v1, 31, v7
	global_load_b128 v[160:163], v[146:147], off
	s_waitcnt vmcnt(1)
	scratch_store_b128 off, v[20:23], off offset:300 ; 16-byte Folded Spill
	v_add_f64 v[20:21], v[20:21], -v[90:91]
	v_add_nc_u32_e32 v23, -2, v120
	s_waitcnt vmcnt(0)
	v_add_f64 v[12:13], v[160:161], -v[90:91]
	s_delay_alu instid0(VALU_DEP_3) | instskip(NEXT) | instid1(VALU_DEP_1)
	v_mul_f64 v[16:17], v[16:17], v[20:21]
	v_fma_f64 v[102:103], v[2:3], v[12:13], v[16:17]
	v_subrev_nc_u32_e32 v2, s22, v120
	v_add_nc_u32_e32 v12, v27, v94
	v_add_nc_u32_e32 v16, v27, v32
	s_ashr_i32 s22, s5, 31
	s_delay_alu instid0(VALU_DEP_3) | instskip(NEXT) | instid1(VALU_DEP_3)
	v_ashrrev_i32_e32 v3, 31, v2
	v_ashrrev_i32_e32 v13, 31, v12
	s_delay_alu instid0(VALU_DEP_3) | instskip(NEXT) | instid1(VALU_DEP_3)
	v_ashrrev_i32_e32 v17, 31, v16
	v_lshlrev_b64 v[2:3], 3, v[2:3]
	s_delay_alu instid0(VALU_DEP_3) | instskip(NEXT) | instid1(VALU_DEP_3)
	v_lshlrev_b64 v[12:13], 3, v[12:13]
	v_lshlrev_b64 v[16:17], 3, v[16:17]
	s_delay_alu instid0(VALU_DEP_3) | instskip(SKIP_2) | instid1(VALU_DEP_2)
	v_add_co_u32 v80, vcc_lo, s24, v2
	v_add_nc_u32_e32 v2, v27, v23
	v_add_co_ci_u32_e32 v81, vcc_lo, s25, v3, vcc_lo
	v_ashrrev_i32_e32 v3, 31, v2
	global_load_b128 v[148:151], v[80:81], off
	v_lshlrev_b64 v[2:3], 3, v[2:3]
	s_delay_alu instid0(VALU_DEP_1) | instskip(NEXT) | instid1(VALU_DEP_2)
	v_add_co_u32 v2, vcc_lo, s14, v2
	v_add_co_ci_u32_e32 v3, vcc_lo, s15, v3, vcc_lo
	v_add_co_u32 v12, vcc_lo, s14, v12
	v_add_co_ci_u32_e32 v13, vcc_lo, s15, v13, vcc_lo
	;; [unrolled: 2-line block ×4, first 2 shown]
	global_load_b64 v[2:3], v[2:3], off
	v_add_co_u32 v0, s2, v0, v7
	s_delay_alu instid0(VALU_DEP_1) | instskip(SKIP_1) | instid1(VALU_DEP_3)
	v_add_co_ci_u32_e64 v1, vcc_lo, v4, v1, s2
	v_ashrrev_i32_e32 v4, 31, v38
	v_add_co_u32 v0, vcc_lo, v0, v38
	s_ashr_i32 s2, s6, 31
	global_load_b64 v[16:17], v[16:17], off
	v_add_co_ci_u32_e32 v1, vcc_lo, v1, v4, vcc_lo
	v_add_co_u32 v6, vcc_lo, v0, s6
	v_ashrrev_i32_e32 v0, 31, v89
	s_delay_alu instid0(VALU_DEP_3) | instskip(SKIP_1) | instid1(VALU_DEP_1)
	v_add_co_ci_u32_e32 v7, vcc_lo, s2, v1, vcc_lo
	s_ashr_i32 s2, s21, 31
	v_lshlrev_b64 v[6:7], 3, v[6:7]
	s_delay_alu instid0(VALU_DEP_1) | instskip(NEXT) | instid1(VALU_DEP_2)
	v_add_co_u32 v6, vcc_lo, s18, v6
	v_add_co_ci_u32_e32 v7, vcc_lo, s19, v7, vcc_lo
	v_add_co_u32 v25, vcc_lo, s18, v18
	v_add_co_ci_u32_e32 v26, vcc_lo, s19, v19, vcc_lo
	;; [unrolled: 2-line block ×3, first 2 shown]
	global_load_b64 v[0:1], v[12:13], off
	s_clause 0x1
	global_load_b128 v[4:7], v[6:7], off offset:-16
	global_load_b128 v[10:13], v[25:26], off
	v_lshlrev_b64 v[18:19], 3, v[18:19]
	s_delay_alu instid0(VALU_DEP_1) | instskip(NEXT) | instid1(VALU_DEP_2)
	v_add_co_u32 v62, vcc_lo, s12, v18
	v_add_co_ci_u32_e32 v63, vcc_lo, s13, v19, vcc_lo
	v_add_co_u32 v188, vcc_lo, s12, v14
	v_add_co_ci_u32_e32 v189, vcc_lo, s13, v15, vcc_lo
	global_load_b128 v[42:45], v[188:189], off offset:-8
	s_waitcnt vmcnt(5)
	scratch_store_b64 off, v[2:3], off offset:244 ; 8-byte Folded Spill
	s_waitcnt vmcnt(3)
	scratch_store_b64 off, v[0:1], off offset:156 ; 8-byte Folded Spill
	s_waitcnt vmcnt(2)
	v_mul_f64 v[2:3], v[2:3], v[4:5]
	scratch_store_b128 off, v[4:7], off offset:252 ; 16-byte Folded Spill
	s_waitcnt vmcnt(1)
	v_dual_mov_b32 v57, v13 :: v_dual_mov_b32 v56, v12
	v_dual_mov_b32 v55, v11 :: v_dual_mov_b32 v54, v10
	v_mul_f64 v[168:169], v[4:5], v[2:3]
	v_mul_f64 v[2:3], v[0:1], v[6:7]
	s_delay_alu instid0(VALU_DEP_1) | instskip(SKIP_2) | instid1(VALU_DEP_2)
	v_mul_f64 v[140:141], v[6:7], v[2:3]
	v_mul_f64 v[2:3], v[50:51], v[10:11]
	;; [unrolled: 1-line block ×4, first 2 shown]
	s_delay_alu instid0(VALU_DEP_2) | instskip(NEXT) | instid1(VALU_DEP_2)
	v_mul_f64 v[166:167], v[12:13], v[6:7]
	v_mul_f64 v[4:5], v[148:149], v[2:3]
	global_load_b128 v[0:3], v[80:81], off offset:-16
	v_mul_f64 v[132:133], v[150:151], v[166:167]
	s_waitcnt vmcnt(0)
	s_delay_alu instid0(VALU_DEP_1) | instskip(SKIP_4) | instid1(VALU_DEP_1)
	v_fma_f64 v[6:7], v[0:1], v[168:169], v[132:133]
	v_fma_f64 v[12:13], v[2:3], v[140:141], v[4:5]
	v_mul_f64 v[92:93], v[2:3], v[140:141]
	scratch_store_b128 off, v[0:3], off offset:176 ; 16-byte Folded Spill
	v_add_nc_u32_e32 v2, -2, v64
	v_mul_lo_u32 v95, v2, s3
	s_delay_alu instid0(VALU_DEP_1) | instskip(SKIP_4) | instid1(VALU_DEP_2)
	v_add_nc_u32_e32 v2, v95, v113
	v_add_nc_u32_e32 v35, s3, v95
	scratch_store_b32 off, v2, off offset:168 ; 4-byte Folded Spill
	v_add_nc_u32_e32 v2, v2, v38
	v_lshl_add_u32 v22, s3, 1, v35
	v_add_nc_u32_e32 v100, s6, v2
	v_mov_b32_e32 v24, v2
	v_add_nc_u32_e32 v2, v35, v113
	s_delay_alu instid0(VALU_DEP_4)
	v_add3_u32 v68, v38, v22, v112
	scratch_store_b64 off, v[16:17], off offset:268 ; 8-byte Folded Spill
	v_ashrrev_i32_e32 v101, 31, v100
	scratch_store_b32 off, v2, off offset:164 ; 4-byte Folded Spill
	v_add_nc_u32_e32 v2, v2, v38
	v_ashrrev_i32_e32 v69, 31, v68
	v_lshlrev_b64 v[100:101], 3, v[100:101]
	v_fma_f64 v[6:7], 0x40080000, v[12:13], v[6:7]
	v_add_f64 v[12:13], v[42:43], -v[44:45]
	v_fma_f64 v[42:43], v[0:1], v[168:169], v[4:5]
	v_dual_mov_b32 v19, v2 :: v_dual_add_nc_u32 v114, s6, v2
	v_add_nc_u32_e32 v2, v22, v113
	v_lshlrev_b64 v[68:69], 3, v[68:69]
	s_delay_alu instid0(VALU_DEP_3)
	v_ashrrev_i32_e32 v115, 31, v114
	scratch_store_b32 off, v2, off offset:172 ; 4-byte Folded Spill
	v_add_nc_u32_e32 v2, v2, v38
	scratch_store_b64 off, v[14:15], off    ; 8-byte Folded Spill
	v_lshlrev_b64 v[114:115], 3, v[114:115]
	s_clause 0x2
	scratch_store_b32 off, v24, off offset:128
	scratch_store_b32 off, v19, off offset:100
	;; [unrolled: 1-line block ×3, first 2 shown]
	v_add_nc_u32_e32 v126, s6, v2
	s_delay_alu instid0(VALU_DEP_1) | instskip(SKIP_4) | instid1(VALU_DEP_1)
	v_ashrrev_i32_e32 v127, 31, v126
	v_mul_f64 v[6:7], v[6:7], v[12:13]
	global_load_b64 v[12:13], v[62:63], off offset:-16
	v_fma_f64 v[42:43], 0xbfe80000, v[42:43], v[92:93]
	v_add3_u32 v62, v38, v35, v112
	v_ashrrev_i32_e32 v63, 31, v62
	s_delay_alu instid0(VALU_DEP_1) | instskip(SKIP_2) | instid1(VALU_DEP_1)
	v_lshlrev_b64 v[62:63], 3, v[62:63]
	s_waitcnt vmcnt(0)
	v_add_f64 v[12:13], v[12:13], -v[44:45]
	v_fma_f64 v[82:83], v[42:43], v[12:13], v[6:7]
	v_subrev_nc_u32_e32 v6, s4, v64
	s_delay_alu instid0(VALU_DEP_1) | instskip(NEXT) | instid1(VALU_DEP_1)
	v_ashrrev_i32_e32 v7, 31, v6
	v_lshlrev_b64 v[6:7], 3, v[6:7]
	s_delay_alu instid0(VALU_DEP_1) | instskip(SKIP_1) | instid1(VALU_DEP_3)
	v_add_co_u32 v0, vcc_lo, s26, v6
	v_add3_u32 v6, v38, v95, v112
	v_add_co_ci_u32_e32 v1, vcc_lo, s27, v7, vcc_lo
	s_delay_alu instid0(VALU_DEP_2) | instskip(NEXT) | instid1(VALU_DEP_1)
	v_ashrrev_i32_e32 v7, 31, v6
	v_lshlrev_b64 v[6:7], 3, v[6:7]
	s_delay_alu instid0(VALU_DEP_1) | instskip(NEXT) | instid1(VALU_DEP_2)
	v_add_co_u32 v42, vcc_lo, s14, v6
	v_add_co_ci_u32_e32 v43, vcc_lo, s15, v7, vcc_lo
	v_add_co_u32 v6, vcc_lo, s16, v6
	v_add_co_ci_u32_e32 v7, vcc_lo, s17, v7, vcc_lo
	;; [unrolled: 2-line block ×8, first 2 shown]
	v_lshlrev_b64 v[114:115], 3, v[126:127]
	s_delay_alu instid0(VALU_DEP_1) | instskip(NEXT) | instid1(VALU_DEP_2)
	v_add_co_u32 v170, vcc_lo, s18, v114
	v_add_co_ci_u32_e32 v171, vcc_lo, s19, v115, vcc_lo
	global_load_b64 v[42:43], v[42:43], off
	global_load_b64 v[14:15], v[6:7], off
	;; [unrolled: 1-line block ×6, first 2 shown]
	s_clause 0x2
	global_load_b64 v[74:75], v[100:101], off
	global_load_b64 v[160:161], v[164:165], off
	;; [unrolled: 1-line block ×3, first 2 shown]
	global_load_b128 v[134:137], v[0:1], off
	scratch_store_b128 off, v[54:57], off offset:212 ; 16-byte Folded Spill
	v_dual_mov_b32 v62, v66 :: v_dual_mov_b32 v63, v67
	s_waitcnt vmcnt(8)
	v_fma_f64 v[28:29], v[42:43], 2.0, v[14:15]
	v_dual_mov_b32 v65, v15 :: v_dual_mov_b32 v64, v14
	s_waitcnt vmcnt(6)
	v_fma_f64 v[14:15], v[6:7], 2.0, v[114:115]
	v_fma_f64 v[6:7], v[50:51], 2.0, v[8:9]
	s_waitcnt vmcnt(4)
	v_fma_f64 v[10:11], v[98:99], 2.0, v[76:77]
	s_waitcnt vmcnt(3)
	v_mul_f64 v[8:9], v[28:29], v[74:75]
	s_clause 0x2
	scratch_store_b64 off, v[28:29], off offset:84
	scratch_store_b64 off, v[14:15], off offset:76
	;; [unrolled: 1-line block ×3, first 2 shown]
	v_mul_f64 v[42:43], v[74:75], v[8:9]
	s_waitcnt vmcnt(2)
	v_mul_f64 v[8:9], v[14:15], v[160:161]
	s_delay_alu instid0(VALU_DEP_1) | instskip(SKIP_2) | instid1(VALU_DEP_1)
	v_mul_f64 v[164:165], v[160:161], v[8:9]
	s_waitcnt vmcnt(1)
	v_mul_f64 v[8:9], v[10:11], v[60:61]
	v_mul_f64 v[86:87], v[60:61], v[8:9]
	;; [unrolled: 1-line block ×3, first 2 shown]
	s_delay_alu instid0(VALU_DEP_1)
	v_mul_f64 v[16:17], v[54:55], v[8:9]
	global_load_b128 v[8:11], v[0:1], off offset:-16
	s_waitcnt vmcnt(1)
	v_mul_f64 v[30:31], v[136:137], v[86:87]
	v_mul_f64 v[14:15], v[134:135], v[16:17]
	v_add_nc_u32_e32 v17, 2, v120
	v_add_nc_u32_e32 v16, s3, v22
	s_load_b128 s[0:3], s[0:1], 0x60
	s_waitcnt vmcnt(0)
	s_delay_alu instid0(VALU_DEP_4) | instskip(NEXT) | instid1(VALU_DEP_4)
	v_fma_f64 v[28:29], v[8:9], v[42:43], v[30:31]
	v_fma_f64 v[56:57], v[10:11], v[164:165], v[14:15]
	v_mul_f64 v[36:37], v[10:11], v[164:165]
	v_fma_f64 v[42:43], v[8:9], v[42:43], v[14:15]
	scratch_store_b128 off, v[8:11], off offset:104 ; 16-byte Folded Spill
	v_add_nc_u32_e32 v10, v39, v122
	v_fma_f64 v[28:29], 0x40080000, v[56:57], v[28:29]
	v_add_nc_u32_e32 v56, s21, v19
	v_fma_f64 v[42:43], 0xbfe80000, v[42:43], v[36:37]
	s_delay_alu instid0(VALU_DEP_2) | instskip(NEXT) | instid1(VALU_DEP_1)
	v_ashrrev_i32_e32 v57, 31, v56
	v_lshlrev_b64 v[2:3], 3, v[56:57]
	s_delay_alu instid0(VALU_DEP_1) | instskip(NEXT) | instid1(VALU_DEP_2)
	v_add_co_u32 v56, vcc_lo, s12, v2
	v_add_co_ci_u32_e32 v57, vcc_lo, s13, v3, vcc_lo
	scratch_store_b64 off, v[2:3], off offset:56 ; 8-byte Folded Spill
	global_load_b64 v[56:57], v[56:57], off
	s_waitcnt vmcnt(0)
	v_add_f64 v[56:57], v[56:57], -v[44:45]
	s_delay_alu instid0(VALU_DEP_1) | instskip(SKIP_1) | instid1(VALU_DEP_1)
	v_mul_f64 v[28:29], v[28:29], v[56:57]
	v_add_nc_u32_e32 v56, s21, v24
	v_ashrrev_i32_e32 v57, 31, v56
	s_delay_alu instid0(VALU_DEP_1) | instskip(NEXT) | instid1(VALU_DEP_1)
	v_lshlrev_b64 v[2:3], 3, v[56:57]
	v_add_co_u32 v56, vcc_lo, s12, v2
	s_delay_alu instid0(VALU_DEP_2) | instskip(SKIP_4) | instid1(VALU_DEP_1)
	v_add_co_ci_u32_e32 v57, vcc_lo, s13, v3, vcc_lo
	scratch_store_b64 off, v[2:3], off offset:68 ; 8-byte Folded Spill
	v_add_nc_u32_e32 v2, s6, v121
	global_load_b64 v[56:57], v[56:57], off
	v_ashrrev_i32_e32 v3, 31, v2
	v_lshlrev_b64 v[178:179], 3, v[2:3]
	v_add_nc_u32_e32 v3, v16, v113
	v_add_nc_u32_e32 v2, s7, v2
	s_waitcnt vmcnt(0)
	v_add_f64 v[56:57], v[56:57], -v[44:45]
	s_delay_alu instid0(VALU_DEP_1) | instskip(SKIP_1) | instid1(VALU_DEP_1)
	v_fma_f64 v[28:29], v[42:43], v[56:57], v[28:29]
	v_add_nc_u32_e32 v42, v39, v88
	v_ashrrev_i32_e32 v43, 31, v42
	s_delay_alu instid0(VALU_DEP_1) | instskip(NEXT) | instid1(VALU_DEP_1)
	v_lshlrev_b64 v[42:43], 3, v[42:43]
	v_add_co_u32 v56, vcc_lo, s14, v42
	s_delay_alu instid0(VALU_DEP_2)
	v_add_co_ci_u32_e32 v57, vcc_lo, s15, v43, vcc_lo
	v_add_co_u32 v42, vcc_lo, s16, v42
	v_add_co_ci_u32_e32 v43, vcc_lo, s17, v43, vcc_lo
	global_load_b64 v[138:139], v[56:57], off
	global_load_b64 v[180:181], v[42:43], off
	v_add_nc_u32_e32 v42, s21, v10
	s_delay_alu instid0(VALU_DEP_1) | instskip(NEXT) | instid1(VALU_DEP_1)
	v_ashrrev_i32_e32 v43, 31, v42
	v_lshlrev_b64 v[56:57], 3, v[42:43]
	v_add_nc_u32_e32 v42, s6, v42
	s_delay_alu instid0(VALU_DEP_2) | instskip(NEXT) | instid1(VALU_DEP_3)
	v_add_co_u32 v122, vcc_lo, s18, v56
	v_add_co_ci_u32_e32 v123, vcc_lo, s19, v57, vcc_lo
	s_delay_alu instid0(VALU_DEP_3) | instskip(SKIP_2) | instid1(VALU_DEP_1)
	v_ashrrev_i32_e32 v43, 31, v42
	global_load_b64 v[170:171], v[122:123], off
	v_lshlrev_b64 v[33:34], 3, v[42:43]
	v_add_co_u32 v42, vcc_lo, s18, v33
	s_delay_alu instid0(VALU_DEP_2) | instskip(SKIP_4) | instid1(VALU_DEP_1)
	v_add_co_ci_u32_e32 v43, vcc_lo, s19, v34, vcc_lo
	global_load_b64 v[184:185], v[42:43], off
	s_waitcnt vmcnt(2)
	v_add_f64 v[54:55], v[138:139], v[180:181]
	s_waitcnt vmcnt(1)
	v_mul_f64 v[58:59], v[54:55], v[170:171]
	s_waitcnt vmcnt(0)
	v_mul_f64 v[54:55], v[54:55], v[184:185]
	s_delay_alu instid0(VALU_DEP_2)
	v_fma_f64 v[42:43], v[58:59], v[184:185], v[176:177]
	v_add_co_u32 v176, vcc_lo, s12, v178
	v_add_co_ci_u32_e32 v177, vcc_lo, s13, v179, vcc_lo
	global_load_b128 v[98:101], v[176:177], off
	v_fma_f64 v[122:123], 0x40080000, v[40:41], v[42:43]
	v_add_nc_u32_e32 v40, v27, v17
	v_dual_mov_b32 v42, v52 :: v_dual_mov_b32 v43, v53
	s_delay_alu instid0(VALU_DEP_2) | instskip(NEXT) | instid1(VALU_DEP_1)
	v_ashrrev_i32_e32 v41, 31, v40
	v_lshlrev_b64 v[40:41], 3, v[40:41]
	s_delay_alu instid0(VALU_DEP_1) | instskip(NEXT) | instid1(VALU_DEP_2)
	v_add_co_u32 v40, vcc_lo, s14, v40
	v_add_co_ci_u32_e32 v41, vcc_lo, s15, v41, vcc_lo
	s_waitcnt vmcnt(0)
	v_add_f64 v[8:9], v[98:99], -v[90:91]
	global_load_b64 v[164:165], v[40:41], off
	global_load_b64 v[98:99], v[25:26], off offset:16
	global_load_b64 v[11:12], v[80:81], off offset:16
	v_fma_f64 v[80:81], v[150:151], v[166:167], v[4:5]
	scratch_store_b32 off, v3, off offset:192 ; 4-byte Folded Spill
	v_add_nc_u32_e32 v3, v3, v38
	scratch_store_b32 off, v3, off offset:140 ; 4-byte Folded Spill
	v_fma_f64 v[8:9], v[122:123], v[8:9], v[102:103]
	global_load_b128 v[120:123], v[188:189], off offset:8
	s_waitcnt vmcnt(2)
	v_mul_f64 v[40:41], v[164:165], v[98:99]
	s_waitcnt vmcnt(1)
	v_dual_mov_b32 v21, v12 :: v_dual_mov_b32 v20, v11
	s_delay_alu instid0(VALU_DEP_2) | instskip(NEXT) | instid1(VALU_DEP_1)
	v_mul_f64 v[186:187], v[98:99], v[40:41]
	v_fma_f64 v[40:41], v[11:12], v[186:187], v[92:93]
	s_delay_alu instid0(VALU_DEP_1) | instskip(SKIP_4) | instid1(VALU_DEP_2)
	v_fma_f64 v[40:41], 0x40080000, v[80:81], v[40:41]
	s_waitcnt vmcnt(0)
	v_add_f64 v[80:81], v[120:121], -v[44:45]
	v_add_nc_u32_e32 v120, s6, v3
	v_fma_f64 v[3:4], v[20:21], v[186:187], v[4:5]
	v_ashrrev_i32_e32 v121, 31, v120
	s_delay_alu instid0(VALU_DEP_4) | instskip(SKIP_1) | instid1(VALU_DEP_3)
	v_fma_f64 v[92:93], v[40:41], v[80:81], v[82:83]
	v_add3_u32 v40, v38, v16, v112
	v_lshlrev_b64 v[112:113], 3, v[120:121]
	v_fma_f64 v[3:4], 0xbfe80000, v[3:4], v[132:133]
	s_delay_alu instid0(VALU_DEP_3) | instskip(NEXT) | instid1(VALU_DEP_1)
	v_ashrrev_i32_e32 v41, 31, v40
	v_lshlrev_b64 v[40:41], 3, v[40:41]
	s_delay_alu instid0(VALU_DEP_1) | instskip(NEXT) | instid1(VALU_DEP_2)
	v_add_co_u32 v80, vcc_lo, s14, v40
	v_add_co_ci_u32_e32 v81, vcc_lo, s15, v41, vcc_lo
	v_add_co_u32 v82, vcc_lo, s16, v40
	v_add_co_ci_u32_e32 v83, vcc_lo, s17, v41, vcc_lo
	v_add_co_u32 v112, vcc_lo, s18, v112
	v_add_co_ci_u32_e32 v113, vcc_lo, s19, v113, vcc_lo
	global_load_b64 v[188:189], v[80:81], off
	global_load_b64 v[18:19], v[82:83], off
	;; [unrolled: 1-line block ×3, first 2 shown]
	global_load_b64 v[112:113], v[0:1], off offset:16
	s_waitcnt vmcnt(2)
	v_fma_f64 v[0:1], v[188:189], 2.0, v[18:19]
	scratch_store_b64 off, v[0:1], off offset:132 ; 8-byte Folded Spill
	s_waitcnt vmcnt(1)
	v_mul_f64 v[0:1], v[0:1], v[80:81]
	s_delay_alu instid0(VALU_DEP_1) | instskip(SKIP_1) | instid1(VALU_DEP_1)
	v_mul_f64 v[40:41], v[80:81], v[0:1]
	s_waitcnt vmcnt(0)
	v_fma_f64 v[0:1], v[112:113], v[40:41], v[36:37]
	v_fma_f64 v[36:37], v[136:137], v[86:87], v[14:15]
	v_dual_mov_b32 v87, v21 :: v_dual_mov_b32 v86, v20
	s_delay_alu instid0(VALU_DEP_2) | instskip(SKIP_1) | instid1(VALU_DEP_1)
	v_fma_f64 v[0:1], 0x40080000, v[36:37], v[0:1]
	v_add_nc_u32_e32 v36, s6, v126
	v_ashrrev_i32_e32 v37, 31, v36
	s_delay_alu instid0(VALU_DEP_1) | instskip(NEXT) | instid1(VALU_DEP_1)
	v_lshlrev_b64 v[11:12], 3, v[36:37]
	v_add_co_u32 v36, vcc_lo, s12, v11
	s_delay_alu instid0(VALU_DEP_2) | instskip(SKIP_3) | instid1(VALU_DEP_1)
	v_add_co_ci_u32_e32 v37, vcc_lo, s13, v12, vcc_lo
	global_load_b64 v[36:37], v[36:37], off
	s_waitcnt vmcnt(0)
	v_add_f64 v[36:37], v[36:37], -v[44:45]
	v_fma_f64 v[28:29], v[0:1], v[36:37], v[28:29]
	v_fma_f64 v[0:1], v[58:59], v[184:185], v[46:47]
	v_add_nc_u32_e32 v36, s6, v10
	v_add_nc_u32_e32 v58, s7, v84
	s_delay_alu instid0(VALU_DEP_2) | instskip(NEXT) | instid1(VALU_DEP_2)
	v_ashrrev_i32_e32 v37, 31, v36
	v_ashrrev_i32_e32 v59, 31, v58
	s_delay_alu instid0(VALU_DEP_2) | instskip(NEXT) | instid1(VALU_DEP_2)
	v_lshlrev_b64 v[68:69], 3, v[36:37]
	v_lshlrev_b64 v[58:59], 3, v[58:59]
	s_delay_alu instid0(VALU_DEP_2) | instskip(NEXT) | instid1(VALU_DEP_3)
	v_add_co_u32 v102, vcc_lo, s12, v68
	v_add_co_ci_u32_e32 v103, vcc_lo, s13, v69, vcc_lo
	v_fma_f64 v[0:1], 0xbfe80000, v[0:1], v[48:49]
	global_load_b128 v[46:49], v[102:103], off
	s_waitcnt vmcnt(0)
	v_add_f64 v[46:47], v[46:47], -v[90:91]
	s_delay_alu instid0(VALU_DEP_1) | instskip(SKIP_2) | instid1(VALU_DEP_1)
	v_fma_f64 v[26:27], v[0:1], v[46:47], v[8:9]
	v_add_f64 v[0:1], v[122:123], -v[44:45]
	v_add_nc_u32_e32 v46, s7, v85
	v_ashrrev_i32_e32 v47, 31, v46
	s_delay_alu instid0(VALU_DEP_1) | instskip(NEXT) | instid1(VALU_DEP_4)
	v_lshlrev_b64 v[46:47], 3, v[46:47]
	v_fma_f64 v[24:25], v[3:4], v[0:1], v[92:93]
	v_lshl_add_u32 v0, s6, 2, v89
	v_ashrrev_i32_e32 v3, 31, v2
	s_delay_alu instid0(VALU_DEP_2) | instskip(NEXT) | instid1(VALU_DEP_2)
	v_ashrrev_i32_e32 v1, 31, v0
	v_lshlrev_b64 v[2:3], 3, v[2:3]
	s_delay_alu instid0(VALU_DEP_2) | instskip(NEXT) | instid1(VALU_DEP_1)
	v_lshlrev_b64 v[0:1], 3, v[0:1]
	v_add_co_u32 v0, vcc_lo, s18, v0
	s_delay_alu instid0(VALU_DEP_2)
	v_add_co_ci_u32_e32 v1, vcc_lo, s19, v1, vcc_lo
	v_add_co_u32 v46, vcc_lo, s18, v46
	v_add_co_ci_u32_e32 v47, vcc_lo, s19, v47, vcc_lo
	v_add_co_u32 v58, vcc_lo, s18, v58
	v_add_co_ci_u32_e32 v59, vcc_lo, s19, v59, vcc_lo
	global_load_b64 v[92:93], v[46:47], off
	v_add_co_u32 v2, vcc_lo, s18, v2
	s_clause 0x1
	global_load_b64 v[20:21], v[58:59], off
	global_load_b64 v[132:133], v[0:1], off
	v_mul_f64 v[58:59], v[148:149], v[182:183]
	v_mul_f64 v[0:1], v[148:149], v[70:71]
	v_add_co_ci_u32_e32 v3, vcc_lo, s19, v3, vcc_lo
	v_mul_f64 v[46:47], v[148:149], v[108:109]
	v_add_co_u32 v88, vcc_lo, s12, v128
	v_add_co_ci_u32_e32 v89, vcc_lo, s13, v129, vcc_lo
	v_add_co_u32 v188, vcc_lo, s12, v116
	v_add_co_ci_u32_e32 v189, vcc_lo, s13, v117, vcc_lo
	v_mul_f64 v[58:59], v[182:183], v[58:59]
	v_mul_f64 v[0:1], v[70:71], v[0:1]
	;; [unrolled: 1-line block ×3, first 2 shown]
	s_waitcnt vmcnt(2)
	v_mul_f64 v[84:85], v[92:93], v[92:93]
	s_waitcnt vmcnt(1)
	v_mul_f64 v[90:91], v[20:21], v[20:21]
	scratch_store_b64 off, v[20:21], off offset:204 ; 8-byte Folded Spill
	v_fma_f64 v[46:47], v[148:149], v[46:47], v[84:85]
	v_dual_mov_b32 v82, v104 :: v_dual_mov_b32 v83, v105
	v_fma_f64 v[58:59], v[148:149], v[58:59], v[90:91]
	s_waitcnt vmcnt(0)
	v_mul_f64 v[90:91], v[132:133], v[132:133]
	v_dual_mov_b32 v84, v106 :: v_dual_mov_b32 v85, v107
	v_dual_mov_b32 v107, v77 :: v_dual_mov_b32 v106, v76
	v_mul_f64 v[46:47], v[42:43], v[46:47]
	v_mul_f64 v[58:59], v[62:63], v[58:59]
	v_fma_f64 v[0:1], v[148:149], v[0:1], v[90:91]
	global_load_b64 v[90:91], v[2:3], off
	v_mul_f64 v[2:3], v[148:149], v[130:131]
	v_mul_f64 v[0:1], v[50:51], v[0:1]
	v_fma_f64 v[50:51], v[42:43], 2.0, v[118:119]
	s_delay_alu instid0(VALU_DEP_3) | instskip(NEXT) | instid1(VALU_DEP_2)
	v_mul_f64 v[2:3], v[130:131], v[2:3]
	v_mul_f64 v[126:127], v[50:51], v[174:175]
	s_delay_alu instid0(VALU_DEP_1) | instskip(NEXT) | instid1(VALU_DEP_1)
	v_mul_f64 v[50:51], v[134:135], v[126:127]
	v_mul_f64 v[50:51], v[174:175], v[50:51]
	s_delay_alu instid0(VALU_DEP_1) | instskip(SKIP_1) | instid1(VALU_DEP_1)
	v_fma_f64 v[46:47], v[134:135], v[50:51], v[46:47]
	v_fma_f64 v[50:51], v[62:63], 2.0, v[124:125]
	v_mul_f64 v[4:5], v[50:51], v[152:153]
	s_clause 0x1
	scratch_store_b64 off, v[11:12], off offset:276
	scratch_store_b64 off, v[4:5], off offset:144
	v_mul_f64 v[50:51], v[134:135], v[4:5]
	v_mul_f64 v[4:5], v[6:7], v[104:105]
	s_delay_alu instid0(VALU_DEP_2) | instskip(NEXT) | instid1(VALU_DEP_2)
	v_mul_f64 v[50:51], v[152:153], v[50:51]
	v_mul_f64 v[4:5], v[134:135], v[4:5]
	s_waitcnt vmcnt(0)
	v_mul_f64 v[121:122], v[90:91], v[90:91]
	s_delay_alu instid0(VALU_DEP_2) | instskip(NEXT) | instid1(VALU_DEP_2)
	v_mul_f64 v[4:5], v[104:105], v[4:5]
	v_fma_f64 v[2:3], v[148:149], v[2:3], v[121:122]
	v_fma_f64 v[121:122], v[134:135], v[50:51], v[58:59]
	v_fma_f64 v[50:51], v[78:79], 2.0, v[190:191]
	s_delay_alu instid0(VALU_DEP_4) | instskip(NEXT) | instid1(VALU_DEP_4)
	v_fma_f64 v[8:9], v[134:135], v[4:5], v[0:1]
	v_mul_f64 v[2:3], v[78:79], v[2:3]
	s_delay_alu instid0(VALU_DEP_3) | instskip(NEXT) | instid1(VALU_DEP_3)
	v_mul_f64 v[58:59], v[50:51], v[156:157]
	v_add_f64 v[6:7], v[121:122], v[8:9]
	s_delay_alu instid0(VALU_DEP_2) | instskip(NEXT) | instid1(VALU_DEP_1)
	v_mul_f64 v[50:51], v[134:135], v[58:59]
	v_mul_f64 v[50:51], v[156:157], v[50:51]
	s_delay_alu instid0(VALU_DEP_1)
	v_fma_f64 v[10:11], v[134:135], v[50:51], v[2:3]
	global_load_b128 v[50:53], v[188:189], off
	v_mul_f64 v[2:3], v[148:149], v[134:135]
	v_add_f64 v[4:5], v[46:47], v[10:11]
	scratch_store_b64 off, v[2:3], off offset:8 ; 8-byte Folded Spill
	v_fma_f64 v[4:5], 0x40080000, v[6:7], v[4:5]
	s_waitcnt vmcnt(0)
	v_add_f64 v[6:7], v[50:51], -v[44:45]
	s_delay_alu instid0(VALU_DEP_1) | instskip(SKIP_1) | instid1(VALU_DEP_1)
	v_mul_f64 v[50:51], v[6:7], v[4:5]
	v_add_f64 v[4:5], v[46:47], v[8:9]
	v_fma_f64 v[46:47], 0xbfe80000, v[4:5], v[121:122]
	global_load_b128 v[4:7], v[88:89], off
	s_waitcnt vmcnt(0)
	v_add_f64 v[4:5], v[4:5], -v[44:45]
	s_delay_alu instid0(VALU_DEP_1)
	v_fma_f64 v[12:13], v[4:5], v[46:47], v[50:51]
	s_waitcnt lgkmcnt(0)
	v_add_co_u32 v46, vcc_lo, s0, v96
	v_add_co_ci_u32_e32 v47, vcc_lo, s1, v97, vcc_lo
	s_mov_b32 s1, 0x3fc55555
	s_mov_b32 s0, 0x55555555
	global_load_b64 v[0:1], v[46:47], off
	scratch_load_b64 v[46:47], off, off offset:40 ; 8-byte Folded Reload
	s_mov_b32 s4, s0
	s_waitcnt vmcnt(1)
	v_div_scale_f64 v[50:51], null, v[0:1], v[0:1], v[2:3]
	scratch_store_b64 off, v[0:1], off offset:16 ; 8-byte Folded Spill
	v_rcp_f64_e32 v[96:97], v[50:51]
	s_waitcnt_depctr 0xfff
	v_fma_f64 v[116:117], -v[50:51], v[96:97], 1.0
	s_delay_alu instid0(VALU_DEP_1) | instskip(NEXT) | instid1(VALU_DEP_1)
	v_fma_f64 v[96:97], v[96:97], v[116:117], v[96:97]
	v_fma_f64 v[116:117], -v[50:51], v[96:97], 1.0
	s_delay_alu instid0(VALU_DEP_1) | instskip(SKIP_1) | instid1(VALU_DEP_1)
	v_fma_f64 v[96:97], v[96:97], v[116:117], v[96:97]
	v_div_scale_f64 v[116:117], vcc_lo, v[2:3], v[0:1], v[2:3]
	v_mul_f64 v[0:1], v[116:117], v[96:97]
	s_delay_alu instid0(VALU_DEP_1) | instskip(NEXT) | instid1(VALU_DEP_1)
	v_fma_f64 v[50:51], -v[50:51], v[0:1], v[116:117]
	v_div_fmas_f64 v[0:1], v[50:51], v[96:97], v[0:1]
	scratch_store_b128 off, v[70:73], off offset:284 ; 16-byte Folded Spill
	s_waitcnt vmcnt(0)
	v_mul_f64 v[70:71], v[46:47], v[82:83]
	scratch_load_b64 v[46:47], off, off offset:332 ; 8-byte Folded Reload
	v_dual_mov_b32 v50, v138 :: v_dual_mov_b32 v51, v139
	v_dual_mov_b32 v83, v19 :: v_dual_mov_b32 v82, v18
	scratch_store_b64 off, v[0:1], off offset:24 ; 8-byte Folded Spill
	v_div_scale_f64 v[0:1], null, v[134:135], v[134:135], 1.0
	v_mul_f64 v[78:79], v[70:71], v[132:133]
	s_delay_alu instid0(VALU_DEP_2) | instskip(SKIP_2) | instid1(VALU_DEP_1)
	v_rcp_f64_e32 v[96:97], v[0:1]
	s_waitcnt_depctr 0xfff
	v_fma_f64 v[116:117], -v[0:1], v[96:97], 1.0
	v_fma_f64 v[96:97], v[96:97], v[116:117], v[96:97]
	s_delay_alu instid0(VALU_DEP_1) | instskip(NEXT) | instid1(VALU_DEP_1)
	v_fma_f64 v[116:117], -v[0:1], v[96:97], 1.0
	v_fma_f64 v[96:97], v[96:97], v[116:117], v[96:97]
	v_div_scale_f64 v[116:117], vcc_lo, 1.0, v[134:135], 1.0
	s_delay_alu instid0(VALU_DEP_1) | instskip(NEXT) | instid1(VALU_DEP_1)
	v_mul_f64 v[2:3], v[116:117], v[96:97]
	v_fma_f64 v[0:1], -v[0:1], v[2:3], v[116:117]
	s_waitcnt vmcnt(0)
	v_mul_f64 v[70:71], v[46:47], v[156:157]
	scratch_load_b64 v[46:47], off, off offset:48 ; 8-byte Folded Reload
	v_div_fmas_f64 v[4:5], v[0:1], v[96:97], v[2:3]
	v_div_scale_f64 v[2:3], null, v[148:149], v[148:149], 1.0
	v_mul_f64 v[128:129], v[70:71], v[90:91]
	v_fma_f64 v[70:71], v[70:71], v[90:91], v[78:79]
	s_delay_alu instid0(VALU_DEP_3) | instskip(SKIP_2) | instid1(VALU_DEP_1)
	v_rcp_f64_e32 v[96:97], v[2:3]
	s_waitcnt_depctr 0xfff
	v_fma_f64 v[116:117], -v[2:3], v[96:97], 1.0
	v_fma_f64 v[96:97], v[96:97], v[116:117], v[96:97]
	s_delay_alu instid0(VALU_DEP_1) | instskip(NEXT) | instid1(VALU_DEP_1)
	v_fma_f64 v[116:117], -v[2:3], v[96:97], 1.0
	v_fma_f64 v[96:97], v[96:97], v[116:117], v[96:97]
	v_div_scale_f64 v[116:117], vcc_lo, 1.0, v[148:149], 1.0
	s_delay_alu instid0(VALU_DEP_1) | instskip(NEXT) | instid1(VALU_DEP_1)
	v_mul_f64 v[0:1], v[116:117], v[96:97]
	v_fma_f64 v[2:3], -v[2:3], v[0:1], v[116:117]
	s_waitcnt vmcnt(0)
	v_mul_f64 v[72:73], v[46:47], v[174:175]
	scratch_load_b64 v[46:47], off, off offset:196 ; 8-byte Folded Reload
	v_div_fmas_f64 v[0:1], v[2:3], v[96:97], v[0:1]
	v_fma_f64 v[2:3], v[112:113], v[40:41], v[14:15]
	v_add_nc_u32_e32 v14, s6, v120
	s_delay_alu instid0(VALU_DEP_1) | instskip(NEXT) | instid1(VALU_DEP_1)
	v_ashrrev_i32_e32 v15, 31, v14
	v_lshlrev_b64 v[116:117], 3, v[14:15]
	s_delay_alu instid0(VALU_DEP_1) | instskip(NEXT) | instid1(VALU_DEP_2)
	v_add_co_u32 v14, vcc_lo, s12, v116
	v_add_co_ci_u32_e32 v15, vcc_lo, s13, v117, vcc_lo
	global_load_b64 v[14:15], v[14:15], off
	v_fma_f64 v[2:3], 0xbfe80000, v[2:3], v[30:31]
	s_waitcnt vmcnt(0)
	v_add_f64 v[14:15], v[14:15], -v[44:45]
	s_delay_alu instid0(VALU_DEP_1) | instskip(SKIP_2) | instid1(VALU_DEP_2)
	v_fma_f64 v[2:3], v[2:3], v[14:15], v[28:29]
	v_add_nc_u32_e32 v14, s7, v36
	v_add_f64 v[36:37], v[8:9], v[10:11]
	v_ashrrev_i32_e32 v15, 31, v14
	s_delay_alu instid0(VALU_DEP_1) | instskip(NEXT) | instid1(VALU_DEP_1)
	v_lshlrev_b64 v[14:15], 3, v[14:15]
	v_add_co_u32 v14, vcc_lo, s18, v14
	s_delay_alu instid0(VALU_DEP_2)
	v_add_co_ci_u32_e32 v15, vcc_lo, s19, v15, vcc_lo
	v_add_co_u32 v30, vcc_lo, s12, v144
	v_add_co_ci_u32_e32 v31, vcc_lo, s13, v145, vcc_lo
	global_load_b64 v[96:97], v[14:15], off
	v_mul_f64 v[14:15], v[148:149], v[170:171]
	v_fma_f64 v[144:145], v[72:73], v[92:93], v[128:129]
	v_fma_f64 v[72:73], v[72:73], v[92:93], v[78:79]
	s_delay_alu instid0(VALU_DEP_3) | instskip(SKIP_2) | instid1(VALU_DEP_1)
	v_mul_f64 v[14:15], v[170:171], v[14:15]
	s_waitcnt vmcnt(0)
	v_mul_f64 v[28:29], v[96:97], v[96:97]
	v_fma_f64 v[14:15], v[148:149], v[14:15], v[28:29]
	v_fma_f64 v[28:29], v[50:51], 2.0, v[180:181]
	s_delay_alu instid0(VALU_DEP_2) | instskip(NEXT) | instid1(VALU_DEP_2)
	v_mul_f64 v[14:15], v[50:51], v[14:15]
	v_mul_f64 v[40:41], v[28:29], v[184:185]
	s_delay_alu instid0(VALU_DEP_1) | instskip(NEXT) | instid1(VALU_DEP_1)
	v_mul_f64 v[28:29], v[134:135], v[40:41]
	v_mul_f64 v[28:29], v[184:185], v[28:29]
	s_delay_alu instid0(VALU_DEP_1) | instskip(NEXT) | instid1(VALU_DEP_1)
	v_fma_f64 v[14:15], v[134:135], v[28:29], v[14:15]
	v_add_f64 v[28:29], v[121:122], v[14:15]
	global_load_b128 v[120:123], v[30:31], off
	v_add_f64 v[8:9], v[8:9], v[14:15]
	v_fma_f64 v[28:29], 0x40080000, v[36:37], v[28:29]
	s_delay_alu instid0(VALU_DEP_2) | instskip(SKIP_4) | instid1(VALU_DEP_3)
	v_fma_f64 v[8:9], 0xbfe80000, v[8:9], v[10:11]
	s_waitcnt vmcnt(0)
	v_add_f64 v[36:37], v[120:121], -v[44:45]
	v_mul_f64 v[120:121], v[46:47], v[152:153]
	v_dual_mov_b32 v46, v160 :: v_dual_mov_b32 v47, v161
	v_fma_f64 v[12:13], v[36:37], v[28:29], v[12:13]
	v_add_co_u32 v28, vcc_lo, s12, v142
	v_add_co_ci_u32_e32 v29, vcc_lo, s13, v143, vcc_lo
	v_add_co_u32 v36, vcc_lo, s12, v110
	v_add_co_ci_u32_e32 v37, vcc_lo, s13, v111, vcc_lo
	;; [unrolled: 2-line block ×3, first 2 shown]
	s_clause 0x2
	global_load_b64 v[28:29], v[28:29], off
	global_load_b64 v[66:67], v[66:67], off
	;; [unrolled: 1-line block ×3, first 2 shown]
	v_fma_f64 v[132:133], v[120:121], v[20:21], v[78:79]
	v_mul_f64 v[120:121], v[120:121], v[20:21]
	scratch_load_b64 v[20:21], off, off offset:32 ; 8-byte Folded Reload
	v_fma_f64 v[132:133], 0x40080000, v[132:133], v[144:145]
	v_fma_f64 v[72:73], 0xbfe80000, v[72:73], v[120:121]
	s_waitcnt vmcnt(2)
	v_add_f64 v[66:67], v[66:67], -v[28:29]
	s_waitcnt vmcnt(1)
	v_add_f64 v[36:37], v[36:37], -v[28:29]
	s_delay_alu instid0(VALU_DEP_2) | instskip(NEXT) | instid1(VALU_DEP_1)
	v_mul_f64 v[66:67], v[132:133], v[66:67]
	v_fma_f64 v[36:37], v[72:73], v[36:37], v[66:67]
	s_waitcnt vmcnt(0)
	v_add_co_u32 v66, vcc_lo, s12, v20
	v_add_co_ci_u32_e32 v67, vcc_lo, s13, v21, vcc_lo
	v_fma_f64 v[72:73], v[54:55], v[96:97], v[120:121]
	v_add_co_u32 v56, vcc_lo, s12, v56
	global_load_b64 v[66:67], v[66:67], off
	v_add_co_ci_u32_e32 v57, vcc_lo, s13, v57, vcc_lo
	v_add_co_u32 v10, vcc_lo, s12, v33
	v_add_co_ci_u32_e32 v11, vcc_lo, s13, v34, vcc_lo
	v_dual_mov_b32 v20, v60 :: v_dual_mov_b32 v21, v61
	global_load_b64 v[10:11], v[10:11], off
	v_fma_f64 v[70:71], 0x40080000, v[70:71], v[72:73]
	s_waitcnt vmcnt(1)
	v_add_f64 v[66:67], v[66:67], -v[28:29]
	s_waitcnt vmcnt(0)
	v_add_f64 v[10:11], v[10:11], -v[28:29]
	v_div_fixup_f64 v[28:29], v[0:1], v[148:149], 1.0
	v_mul_f64 v[0:1], v[2:3], s[0:1]
	s_delay_alu instid0(VALU_DEP_4)
	v_fma_f64 v[36:37], v[70:71], v[66:67], v[36:37]
	global_load_b128 v[70:73], v[56:57], off
	v_dual_mov_b32 v67, v65 :: v_dual_mov_b32 v66, v64
	s_waitcnt vmcnt(0)
	v_add_f64 v[14:15], v[70:71], -v[44:45]
	v_dual_mov_b32 v44, v74 :: v_dual_mov_b32 v45, v75
	v_dual_mov_b32 v74, v114 :: v_dual_mov_b32 v75, v115
	s_delay_alu instid0(VALU_DEP_3) | instskip(SKIP_2) | instid1(VALU_DEP_2)
	v_fma_f64 v[8:9], v[14:15], v[8:9], v[12:13]
	v_fma_f64 v[12:13], v[54:55], v[96:97], v[78:79]
	v_div_fixup_f64 v[54:55], v[4:5], v[134:135], 1.0
	v_fma_f64 v[12:13], 0xbfe80000, v[12:13], v[128:129]
	s_delay_alu instid0(VALU_DEP_2) | instskip(NEXT) | instid1(VALU_DEP_2)
	v_mul_f64 v[4:5], v[28:29], v[54:55]
	v_fma_f64 v[10:11], v[12:13], v[10:11], v[36:37]
	v_mul_f64 v[12:13], v[24:25], s[0:1]
	s_delay_alu instid0(VALU_DEP_1) | instskip(NEXT) | instid1(VALU_DEP_1)
	v_fma_f64 v[2:3], v[54:55], v[12:13], 0
	v_fma_f64 v[0:1], v[28:29], v[0:1], v[2:3]
	v_mul_f64 v[2:3], v[8:9], s[0:1]
	v_add_nc_u32_e32 v8, s6, v38
	s_delay_alu instid0(VALU_DEP_1)
	v_add3_u32 v17, v17, s5, v8
	v_add3_u32 v34, v23, s5, v8
	;; [unrolled: 1-line block ×4, first 2 shown]
	s_mov_b32 s5, 0x3fe55555
	v_add_nc_u32_e32 v12, v17, v95
	v_add_nc_u32_e32 v14, v34, v95
	;; [unrolled: 1-line block ×5, first 2 shown]
	v_ashrrev_i32_e32 v13, 31, v12
	v_ashrrev_i32_e32 v15, 31, v14
	;; [unrolled: 1-line block ×4, first 2 shown]
	v_add_nc_u32_e32 v70, v17, v35
	v_lshlrev_b64 v[12:13], 3, v[12:13]
	v_lshlrev_b64 v[14:15], 3, v[14:15]
	v_lshlrev_b64 v[24:25], 3, v[24:25]
	v_lshlrev_b64 v[8:9], 3, v[8:9]
	v_ashrrev_i32_e32 v71, 31, v70
	v_add_nc_u32_e32 v94, v38, v35
	v_ashrrev_i32_e32 v79, 31, v78
	s_delay_alu instid0(VALU_DEP_3) | instskip(NEXT) | instid1(VALU_DEP_2)
	v_lshlrev_b64 v[70:71], 3, v[70:71]
	v_lshlrev_b64 v[78:79], 3, v[78:79]
	v_fma_f64 v[0:1], v[26:27], s[0:1], v[0:1]
	v_add_nc_u32_e32 v26, v110, v95
	v_ashrrev_i32_e32 v95, 31, v94
	s_delay_alu instid0(VALU_DEP_2) | instskip(NEXT) | instid1(VALU_DEP_2)
	v_ashrrev_i32_e32 v27, 31, v26
	v_lshlrev_b64 v[94:95], 3, v[94:95]
	s_delay_alu instid0(VALU_DEP_2) | instskip(SKIP_3) | instid1(VALU_DEP_2)
	v_lshlrev_b64 v[26:27], 3, v[26:27]
	v_fma_f64 v[0:1], v[4:5], v[2:3], v[0:1]
	v_add_nc_u32_e32 v2, v34, v16
	v_add_nc_u32_e32 v4, v38, v16
	v_ashrrev_i32_e32 v3, 31, v2
	s_delay_alu instid0(VALU_DEP_2) | instskip(NEXT) | instid1(VALU_DEP_2)
	v_ashrrev_i32_e32 v5, 31, v4
	v_lshlrev_b64 v[2:3], 3, v[2:3]
	s_delay_alu instid0(VALU_DEP_2) | instskip(SKIP_2) | instid1(VALU_DEP_1)
	v_lshlrev_b64 v[4:5], 3, v[4:5]
	scratch_store_b64 off, v[0:1], off offset:32 ; 8-byte Folded Spill
	v_add_nc_u32_e32 v0, v17, v16
	v_ashrrev_i32_e32 v1, 31, v0
	s_delay_alu instid0(VALU_DEP_1) | instskip(NEXT) | instid1(VALU_DEP_1)
	v_lshlrev_b64 v[0:1], 3, v[0:1]
	v_add_co_u32 v0, vcc_lo, s12, v0
	s_delay_alu instid0(VALU_DEP_2)
	v_add_co_ci_u32_e32 v1, vcc_lo, s13, v1, vcc_lo
	v_add_co_u32 v2, vcc_lo, s12, v2
	v_add_co_ci_u32_e32 v3, vcc_lo, s13, v3, vcc_lo
	v_add_co_u32 v4, vcc_lo, s12, v4
	;; [unrolled: 2-line block ×3, first 2 shown]
	v_add_co_ci_u32_e32 v9, vcc_lo, s13, v9, vcc_lo
	s_clause 0x3
	global_load_b64 v[0:1], v[0:1], off
	global_load_b64 v[2:3], v[2:3], off
	;; [unrolled: 1-line block ×4, first 2 shown]
	v_mul_f64 v[8:9], v[10:11], s[0:1]
	s_mov_b32 s1, 0x3fb55555
	v_add_co_u32 v12, vcc_lo, s12, v12
	v_add_co_ci_u32_e32 v13, vcc_lo, s13, v13, vcc_lo
	v_add_co_u32 v14, vcc_lo, s12, v14
	v_add_co_ci_u32_e32 v15, vcc_lo, s13, v15, vcc_lo
	;; [unrolled: 2-line block ×4, first 2 shown]
	scratch_store_b64 off, v[8:9], off offset:48 ; 8-byte Folded Spill
	s_waitcnt vmcnt(2)
	v_add_f64 v[8:9], v[0:1], -v[2:3]
	s_waitcnt vmcnt(0)
	v_add_f64 v[10:11], v[4:5], -v[32:33]
	s_delay_alu instid0(VALU_DEP_2) | instskip(NEXT) | instid1(VALU_DEP_1)
	v_mul_f64 v[8:9], v[8:9], s[0:1]
	v_fma_f64 v[8:9], v[10:11], s[4:5], -v[8:9]
	s_clause 0x3
	global_load_b64 v[10:11], v[12:13], off
	global_load_b64 v[12:13], v[14:15], off
	;; [unrolled: 1-line block ×4, first 2 shown]
	s_waitcnt vmcnt(3)
	v_add_f64 v[0:1], v[0:1], -v[10:11]
	s_waitcnt vmcnt(2)
	v_add_f64 v[26:27], v[10:11], -v[12:13]
	v_add_f64 v[2:3], v[2:3], -v[12:13]
	s_waitcnt vmcnt(0)
	v_add_f64 v[36:37], v[14:15], -v[24:25]
	v_add_f64 v[4:5], v[4:5], -v[14:15]
	v_mul_f64 v[0:1], v[0:1], s[0:1]
	v_mul_f64 v[26:27], v[26:27], s[0:1]
	;; [unrolled: 1-line block ×3, first 2 shown]
	s_delay_alu instid0(VALU_DEP_4) | instskip(NEXT) | instid1(VALU_DEP_3)
	v_mul_f64 v[4:5], v[4:5], s[0:1]
	v_fma_f64 v[26:27], v[36:37], s[4:5], -v[26:27]
	v_mul_f64 v[36:37], v[64:65], v[44:45]
	s_delay_alu instid0(VALU_DEP_1) | instskip(NEXT) | instid1(VALU_DEP_1)
	v_mul_f64 v[36:37], v[44:45], v[36:37]
	v_mul_f64 v[26:27], v[36:37], v[26:27]
	;; [unrolled: 1-line block ×3, first 2 shown]
	v_add_nc_u32_e32 v18, v110, v22
	s_delay_alu instid0(VALU_DEP_1) | instskip(NEXT) | instid1(VALU_DEP_1)
	v_ashrrev_i32_e32 v19, 31, v18
	v_lshlrev_b64 v[18:19], 3, v[18:19]
	s_delay_alu instid0(VALU_DEP_4) | instskip(NEXT) | instid1(VALU_DEP_1)
	v_mul_f64 v[36:37], v[80:81], v[36:37]
	v_fma_f64 v[8:9], v[36:37], v[8:9], -v[26:27]
	v_add_nc_u32_e32 v26, v34, v22
	v_add_nc_u32_e32 v36, v38, v22
	;; [unrolled: 1-line block ×3, first 2 shown]
	s_delay_alu instid0(VALU_DEP_3) | instskip(NEXT) | instid1(VALU_DEP_3)
	v_ashrrev_i32_e32 v27, 31, v26
	v_ashrrev_i32_e32 v37, 31, v36
	s_delay_alu instid0(VALU_DEP_3) | instskip(NEXT) | instid1(VALU_DEP_3)
	v_ashrrev_i32_e32 v35, 31, v34
	v_lshlrev_b64 v[26:27], 3, v[26:27]
	s_delay_alu instid0(VALU_DEP_3) | instskip(NEXT) | instid1(VALU_DEP_3)
	v_lshlrev_b64 v[36:37], 3, v[36:37]
	v_lshlrev_b64 v[34:35], 3, v[34:35]
	scratch_store_b64 off, v[8:9], off offset:40 ; 8-byte Folded Spill
	v_add_nc_u32_e32 v8, v17, v22
	v_add_f64 v[22:23], v[72:73], -v[6:7]
	s_delay_alu instid0(VALU_DEP_2) | instskip(NEXT) | instid1(VALU_DEP_1)
	v_ashrrev_i32_e32 v9, 31, v8
	v_lshlrev_b64 v[8:9], 3, v[8:9]
	s_delay_alu instid0(VALU_DEP_1) | instskip(NEXT) | instid1(VALU_DEP_2)
	v_add_co_u32 v8, vcc_lo, s12, v8
	v_add_co_ci_u32_e32 v9, vcc_lo, s13, v9, vcc_lo
	v_add_co_u32 v26, vcc_lo, s12, v26
	v_add_co_ci_u32_e32 v27, vcc_lo, s13, v27, vcc_lo
	;; [unrolled: 2-line block ×4, first 2 shown]
	s_clause 0x3
	global_load_b64 v[8:9], v[8:9], off
	global_load_b64 v[26:27], v[26:27], off
	;; [unrolled: 1-line block ×4, first 2 shown]
	v_add_co_u32 v70, vcc_lo, s12, v70
	v_add_co_ci_u32_e32 v71, vcc_lo, s13, v71, vcc_lo
	v_add_co_u32 v78, vcc_lo, s12, v78
	v_add_co_ci_u32_e32 v79, vcc_lo, s13, v79, vcc_lo
	v_add_co_u32 v94, vcc_lo, s12, v94
	v_add_co_ci_u32_e32 v95, vcc_lo, s13, v95, vcc_lo
	v_add_co_u32 v34, vcc_lo, s12, v34
	v_add_co_ci_u32_e32 v35, vcc_lo, s13, v35, vcc_lo
	s_waitcnt vmcnt(2)
	v_add_f64 v[110:111], v[8:9], -v[26:27]
	s_waitcnt vmcnt(0)
	v_add_f64 v[120:121], v[36:37], -v[18:19]
	s_delay_alu instid0(VALU_DEP_2) | instskip(NEXT) | instid1(VALU_DEP_1)
	v_mul_f64 v[110:111], v[110:111], s[0:1]
	v_fma_f64 v[110:111], v[120:121], s[4:5], -v[110:111]
	s_clause 0x3
	global_load_b64 v[120:121], v[70:71], off
	global_load_b64 v[78:79], v[78:79], off
	;; [unrolled: 1-line block ×4, first 2 shown]
	s_waitcnt vmcnt(3)
	v_add_f64 v[8:9], v[8:9], -v[120:121]
	s_waitcnt vmcnt(2)
	v_add_f64 v[70:71], v[120:121], -v[78:79]
	v_add_f64 v[12:13], v[26:27], -v[78:79]
	s_waitcnt vmcnt(0)
	v_add_f64 v[128:129], v[94:95], -v[34:35]
	v_add_f64 v[10:11], v[18:19], -v[34:35]
	;; [unrolled: 1-line block ×3, first 2 shown]
	v_fma_f64 v[0:1], v[8:9], s[4:5], -v[0:1]
	v_mul_f64 v[70:71], v[70:71], s[0:1]
	v_fma_f64 v[2:3], v[12:13], s[4:5], -v[2:3]
	s_delay_alu instid0(VALU_DEP_2) | instskip(SKIP_1) | instid1(VALU_DEP_3)
	v_fma_f64 v[70:71], v[128:129], s[4:5], -v[70:71]
	v_mul_f64 v[128:129], v[114:115], v[46:47]
	v_mul_f64 v[2:3], v[168:169], v[2:3]
	v_dual_mov_b32 v115, v43 :: v_dual_mov_b32 v114, v42
	s_delay_alu instid0(VALU_DEP_3) | instskip(NEXT) | instid1(VALU_DEP_1)
	v_mul_f64 v[128:129], v[46:47], v[128:129]
	v_mul_f64 v[70:71], v[128:129], v[70:71]
	;; [unrolled: 1-line block ×3, first 2 shown]
	s_delay_alu instid0(VALU_DEP_1) | instskip(NEXT) | instid1(VALU_DEP_1)
	v_mul_f64 v[128:129], v[60:61], v[128:129]
	v_fma_f64 v[16:17], v[128:129], v[110:111], -v[70:71]
	v_fma_f64 v[70:71], v[186:187], v[0:1], -v[2:3]
	v_add_f64 v[0:1], v[32:33], -v[24:25]
	v_add_f64 v[2:3], v[36:37], -v[94:95]
	v_mul_f64 v[32:33], v[118:119], v[174:175]
	scratch_store_b64 off, v[16:17], off offset:196 ; 8-byte Folded Spill
	v_mul_f64 v[0:1], v[0:1], s[0:1]
	v_fma_f64 v[2:3], v[2:3], s[4:5], -v[4:5]
	s_delay_alu instid0(VALU_DEP_2) | instskip(NEXT) | instid1(VALU_DEP_1)
	v_fma_f64 v[0:1], v[10:11], s[4:5], -v[0:1]
	v_mul_f64 v[0:1], v[140:141], v[0:1]
	s_delay_alu instid0(VALU_DEP_1)
	v_fma_f64 v[10:11], v[166:167], v[2:3], -v[0:1]
	s_clause 0x1
	global_load_b64 v[24:25], v[102:103], off offset:16
	global_load_b128 v[166:169], v[102:103], off offset:-16
	v_mul_f64 v[0:1], v[180:181], v[184:185]
	v_add_co_u32 v2, vcc_lo, s18, v68
	v_add_co_ci_u32_e32 v3, vcc_lo, s19, v69, vcc_lo
	v_dual_mov_b32 v69, v63 :: v_dual_mov_b32 v68, v62
	s_waitcnt vmcnt(0)
	v_add_f64 v[4:5], v[24:25], -v[166:167]
	v_add_f64 v[12:13], v[48:49], -v[168:169]
	s_delay_alu instid0(VALU_DEP_2) | instskip(NEXT) | instid1(VALU_DEP_1)
	v_mul_f64 v[4:5], v[4:5], s[0:1]
	v_fma_f64 v[4:5], v[12:13], s[4:5], -v[4:5]
	s_clause 0x3
	global_load_b64 v[12:13], v[56:57], off offset:16
	global_load_b128 v[184:187], v[56:57], off offset:-16
	global_load_b128 v[142:145], v[146:147], off offset:-16
	global_load_b64 v[18:19], v[88:89], off offset:16
	s_waitcnt vmcnt(2)
	v_add_f64 v[14:15], v[12:13], -v[184:185]
	v_add_f64 v[16:17], v[72:73], -v[186:187]
	s_delay_alu instid0(VALU_DEP_2) | instskip(NEXT) | instid1(VALU_DEP_1)
	v_mul_f64 v[14:15], v[14:15], s[0:1]
	v_fma_f64 v[14:15], v[16:17], s[4:5], -v[14:15]
	global_load_b64 v[16:17], v[2:3], off
	v_mul_f64 v[2:3], v[50:51], v[170:171]
	global_load_b64 v[170:171], v[146:147], off offset:16
	s_waitcnt vmcnt(3)
	v_add_f64 v[166:167], v[166:167], -v[142:143]
	s_waitcnt vmcnt(1)
	v_mul_f64 v[36:37], v[2:3], v[16:17]
	v_mul_f64 v[0:1], v[0:1], v[16:17]
	s_delay_alu instid0(VALU_DEP_2) | instskip(SKIP_1) | instid1(VALU_DEP_2)
	v_mul_f64 v[2:3], v[36:37], v[14:15]
	v_add_f64 v[14:15], v[168:169], -v[144:145]
	v_mul_f64 v[2:3], v[148:149], v[2:3]
	s_delay_alu instid0(VALU_DEP_1) | instskip(NEXT) | instid1(VALU_DEP_1)
	v_mul_f64 v[2:3], v[54:55], v[2:3]
	v_fma_f64 v[78:79], v[0:1], v[4:5], v[2:3]
	scratch_load_b64 v[0:1], off, off offset:324 ; 8-byte Folded Reload
	v_add_f64 v[2:3], v[162:163], -v[144:145]
	s_waitcnt vmcnt(1)
	v_add_f64 v[4:5], v[170:171], -v[142:143]
	global_load_b128 v[142:145], v[88:89], off offset:-16
	v_mul_f64 v[4:5], v[4:5], s[0:1]
	s_delay_alu instid0(VALU_DEP_1)
	v_fma_f64 v[2:3], v[2:3], s[4:5], -v[4:5]
	s_waitcnt vmcnt(1)
	v_add_co_u32 v0, vcc_lo, s18, v0
	v_add_co_ci_u32_e32 v1, vcc_lo, s19, v1, vcc_lo
	s_waitcnt vmcnt(0)
	v_add_f64 v[26:27], v[18:19], -v[142:143]
	v_add_f64 v[6:7], v[6:7], -v[144:145]
	;; [unrolled: 1-line block ×3, first 2 shown]
	global_load_b64 v[8:9], v[0:1], off
	v_mul_f64 v[0:1], v[42:43], v[108:109]
	v_add_f64 v[146:147], v[186:187], -v[144:145]
	v_mul_f64 v[4:5], v[26:27], s[0:1]
	s_delay_alu instid0(VALU_DEP_1) | instskip(SKIP_4) | instid1(VALU_DEP_1)
	v_fma_f64 v[4:5], v[6:7], s[4:5], -v[4:5]
	v_mul_f64 v[6:7], v[190:191], v[156:157]
	v_add_f64 v[156:157], v[122:123], -v[52:53]
	s_waitcnt vmcnt(0)
	v_mul_f64 v[88:89], v[0:1], v[8:9]
	v_mul_f64 v[0:1], v[88:89], v[4:5]
	;; [unrolled: 1-line block ×3, first 2 shown]
	s_delay_alu instid0(VALU_DEP_2) | instskip(NEXT) | instid1(VALU_DEP_1)
	v_mul_f64 v[0:1], v[148:149], v[0:1]
	v_mul_f64 v[0:1], v[54:55], v[0:1]
	s_delay_alu instid0(VALU_DEP_1)
	v_fma_f64 v[72:73], v[4:5], v[2:3], v[0:1]
	s_clause 0x3
	global_load_b64 v[174:175], v[176:177], off offset:16
	global_load_b128 v[0:3], v[176:177], off offset:-16
	global_load_b64 v[176:177], v[30:31], off offset:16
	global_load_b128 v[142:145], v[30:31], off offset:-16
	v_add_co_u32 v4, vcc_lo, s18, v178
	v_add_co_ci_u32_e32 v5, vcc_lo, s19, v179, vcc_lo
	global_load_b128 v[178:181], v[154:155], off offset:-16
	global_load_b64 v[56:57], v[4:5], off
	v_mul_f64 v[4:5], v[158:159], v[130:131]
	s_waitcnt vmcnt(4)
	v_add_f64 v[26:27], v[174:175], -v[0:1]
	v_add_f64 v[32:33], v[100:101], -v[2:3]
	s_waitcnt vmcnt(2)
	v_add_f64 v[30:31], v[176:177], -v[142:143]
	s_waitcnt vmcnt(1)
	v_add_f64 v[64:65], v[0:1], -v[178:179]
	v_add_f64 v[76:77], v[2:3], -v[180:181]
	global_load_b128 v[0:3], v[188:189], off offset:-16
	s_waitcnt vmcnt(1)
	v_mul_f64 v[130:131], v[4:5], v[56:57]
	v_mul_f64 v[6:7], v[6:7], v[56:57]
	;; [unrolled: 1-line block ×5, first 2 shown]
	s_delay_alu instid0(VALU_DEP_2) | instskip(SKIP_1) | instid1(VALU_DEP_1)
	v_fma_f64 v[26:27], v[32:33], s[4:5], -v[26:27]
	v_add_f64 v[32:33], v[122:123], -v[144:145]
	v_fma_f64 v[30:31], v[32:33], s[4:5], -v[30:31]
	s_delay_alu instid0(VALU_DEP_1) | instskip(SKIP_2) | instid1(VALU_DEP_1)
	v_mul_f64 v[4:5], v[130:131], v[30:31]
	scratch_load_b128 v[30:33], off, off offset:300 ; 16-byte Folded Reload
	v_mul_f64 v[4:5], v[148:149], v[4:5]
	v_mul_f64 v[4:5], v[54:55], v[4:5]
	s_delay_alu instid0(VALU_DEP_1)
	v_fma_f64 v[48:49], v[6:7], v[26:27], v[4:5]
	scratch_load_b64 v[4:5], off, off offset:316 ; 8-byte Folded Reload
	v_mul_f64 v[6:7], v[124:125], v[152:153]
	s_waitcnt vmcnt(1)
	v_dual_mov_b32 v26, v32 :: v_dual_mov_b32 v27, v33
	v_add_f64 v[32:33], v[52:53], -v[2:3]
	global_load_b64 v[52:53], v[188:189], off offset:16
	v_add_f64 v[152:153], v[100:101], -v[26:27]
	v_add_f64 v[26:27], v[26:27], -v[180:181]
	global_load_b64 v[180:181], v[154:155], off offset:16
	v_add_f64 v[154:155], v[144:145], -v[2:3]
	s_waitcnt vmcnt(2)
	v_add_co_u32 v4, vcc_lo, s18, v4
	v_add_co_ci_u32_e32 v5, vcc_lo, s19, v5, vcc_lo
	global_load_b64 v[34:35], v[4:5], off
	v_mul_f64 v[4:5], v[62:63], v[182:183]
	v_add_f64 v[182:183], v[12:13], -v[18:19]
	s_clause 0x1
	scratch_load_b64 v[12:13], off, off offset:236
	scratch_load_b64 v[18:19], off, off offset:228
	s_waitcnt vmcnt(3)
	v_add_f64 v[30:31], v[180:181], -v[178:179]
	v_add_f64 v[178:179], v[142:143], -v[0:1]
	v_add_f64 v[0:1], v[52:53], -v[0:1]
	s_delay_alu instid0(VALU_DEP_3) | instskip(NEXT) | instid1(VALU_DEP_2)
	v_mul_f64 v[2:3], v[30:31], s[0:1]
	v_mul_f64 v[0:1], v[0:1], s[0:1]
	s_delay_alu instid0(VALU_DEP_2) | instskip(NEXT) | instid1(VALU_DEP_2)
	v_fma_f64 v[2:3], v[26:27], s[4:5], -v[2:3]
	v_fma_f64 v[0:1], v[32:33], s[4:5], -v[0:1]
	s_waitcnt vmcnt(2)
	v_mul_f64 v[42:43], v[4:5], v[34:35]
	v_mul_f64 v[4:5], v[6:7], v[34:35]
	;; [unrolled: 1-line block ×3, first 2 shown]
	s_delay_alu instid0(VALU_DEP_3) | instskip(NEXT) | instid1(VALU_DEP_1)
	v_mul_f64 v[0:1], v[42:43], v[0:1]
	v_mul_f64 v[0:1], v[148:149], v[0:1]
	s_delay_alu instid0(VALU_DEP_1) | instskip(NEXT) | instid1(VALU_DEP_1)
	v_mul_f64 v[0:1], v[54:55], v[0:1]
	v_fma_f64 v[184:185], v[4:5], v[2:3], v[0:1]
	s_waitcnt vmcnt(1)
	global_load_b64 v[0:1], v[12:13], off offset:16
	s_waitcnt vmcnt(1)
	global_load_b64 v[2:3], v[18:19], off offset:16
	v_add_f64 v[4:5], v[176:177], -v[52:53]
	s_delay_alu instid0(VALU_DEP_1)
	v_fma_f64 v[4:5], v[4:5], s[4:5], -v[6:7]
	v_add_f64 v[6:7], v[174:175], -v[180:181]
	s_waitcnt vmcnt(1)
	v_mul_f64 v[0:1], v[164:165], v[0:1]
	s_waitcnt vmcnt(0)
	v_mul_f64 v[2:3], v[164:165], v[2:3]
	s_delay_alu instid0(VALU_DEP_2) | instskip(NEXT) | instid1(VALU_DEP_2)
	v_mul_f64 v[0:1], v[98:99], v[0:1]
	v_mul_f64 v[2:3], v[98:99], v[2:3]
	s_delay_alu instid0(VALU_DEP_1) | instskip(SKIP_1) | instid1(VALU_DEP_2)
	v_mul_f64 v[2:3], v[4:5], v[2:3]
	v_add_f64 v[4:5], v[24:25], -v[170:171]
	v_mul_f64 v[2:3], v[86:87], v[2:3]
	s_delay_alu instid0(VALU_DEP_2) | instskip(NEXT) | instid1(VALU_DEP_2)
	v_mul_f64 v[4:5], v[4:5], s[0:1]
	v_mul_f64 v[2:3], v[54:55], v[2:3]
	s_delay_alu instid0(VALU_DEP_2) | instskip(NEXT) | instid1(VALU_DEP_1)
	v_fma_f64 v[4:5], v[6:7], s[4:5], -v[4:5]
	v_fma_f64 v[52:53], v[4:5], v[0:1], v[2:3]
	s_clause 0x1
	scratch_load_b64 v[0:1], off, off offset:268
	scratch_load_b128 v[2:5], off, off offset:284
	global_load_b128 v[24:27], v[18:19], off offset:-16
	s_clause 0x2
	scratch_load_b64 v[6:7], off, off offset:244
	scratch_load_b128 v[60:63], off, off offset:252
	scratch_load_b128 v[102:105], off, off offset:176
	global_load_b128 v[142:145], v[12:13], off offset:-16
	v_mul_f64 v[12:13], v[120:121], s[0:1]
	s_waitcnt vmcnt(5)
	v_mul_f64 v[2:3], v[168:169], s[0:1]
	s_delay_alu instid0(VALU_DEP_2) | instskip(NEXT) | instid1(VALU_DEP_2)
	v_fma_f64 v[12:13], v[152:153], s[4:5], -v[12:13]
	v_fma_f64 v[2:3], v[178:179], s[4:5], -v[2:3]
	v_mul_f64 v[30:31], v[0:1], v[84:85]
	v_mul_f64 v[0:1], v[0:1], v[4:5]
	s_waitcnt vmcnt(3)
	v_mul_f64 v[4:5], v[6:7], v[24:25]
	s_waitcnt vmcnt(2)
	s_delay_alu instid0(VALU_DEP_1) | instskip(NEXT) | instid1(VALU_DEP_1)
	v_mul_f64 v[4:5], v[60:61], v[4:5]
	v_mul_f64 v[4:5], v[2:3], v[4:5]
	;; [unrolled: 1-line block ×3, first 2 shown]
	s_waitcnt vmcnt(1)
	s_delay_alu instid0(VALU_DEP_2) | instskip(NEXT) | instid1(VALU_DEP_2)
	v_mul_f64 v[4:5], v[102:103], v[4:5]
	v_fma_f64 v[24:25], v[64:65], s[4:5], -v[2:3]
	s_waitcnt vmcnt(0)
	v_mul_f64 v[2:3], v[6:7], v[142:143]
	scratch_load_b64 v[6:7], off, off offset:156 ; 8-byte Folded Reload
	v_mul_f64 v[4:5], v[54:55], v[4:5]
	v_mul_f64 v[2:3], v[60:61], v[2:3]
	scratch_load_b32 v61, off, off offset:168 ; 4-byte Folded Reload
	v_fma_f64 v[180:181], v[24:25], v[2:3], v[4:5]
	scratch_load_b128 v[2:5], off, off offset:212 ; 16-byte Folded Reload
	s_waitcnt vmcnt(0)
	v_mul_f64 v[2:3], v[4:5], v[30:31]
	v_mul_f64 v[0:1], v[4:5], v[0:1]
	;; [unrolled: 1-line block ×3, first 2 shown]
	s_delay_alu instid0(VALU_DEP_1) | instskip(NEXT) | instid1(VALU_DEP_1)
	v_fma_f64 v[4:5], v[156:157], s[4:5], -v[4:5]
	v_mul_f64 v[0:1], v[4:5], v[0:1]
	s_delay_alu instid0(VALU_DEP_1) | instskip(NEXT) | instid1(VALU_DEP_1)
	v_mul_f64 v[0:1], v[150:151], v[0:1]
	v_mul_f64 v[0:1], v[54:55], v[0:1]
	s_delay_alu instid0(VALU_DEP_1)
	v_fma_f64 v[12:13], v[12:13], v[2:3], v[0:1]
	v_dual_mov_b32 v2, v62 :: v_dual_mov_b32 v3, v63
	s_clause 0x2
	scratch_load_b32 v62, off, off offset:172
	scratch_load_b32 v63, off, off offset:192
	;; [unrolled: 1-line block ×3, first 2 shown]
	v_mul_f64 v[4:5], v[6:7], v[144:145]
	v_mul_f64 v[6:7], v[6:7], v[26:27]
	s_delay_alu instid0(VALU_DEP_2) | instskip(SKIP_1) | instid1(VALU_DEP_3)
	v_mul_f64 v[0:1], v[2:3], v[4:5]
	v_mul_f64 v[4:5], v[146:147], s[0:1]
	;; [unrolled: 1-line block ×3, first 2 shown]
	s_delay_alu instid0(VALU_DEP_2) | instskip(NEXT) | instid1(VALU_DEP_1)
	v_fma_f64 v[4:5], v[154:155], s[4:5], -v[4:5]
	v_mul_f64 v[2:3], v[4:5], v[2:3]
	v_mul_f64 v[4:5], v[14:15], s[0:1]
	s_delay_alu instid0(VALU_DEP_2) | instskip(NEXT) | instid1(VALU_DEP_2)
	v_mul_f64 v[2:3], v[104:105], v[2:3]
	v_fma_f64 v[4:5], v[76:77], s[4:5], -v[4:5]
	s_delay_alu instid0(VALU_DEP_2) | instskip(NEXT) | instid1(VALU_DEP_1)
	v_mul_f64 v[2:3], v[54:55], v[2:3]
	v_fma_f64 v[32:33], v[4:5], v[0:1], v[2:3]
	v_add3_u32 v3, v61, v39, s6
	s_delay_alu instid0(VALU_DEP_1) | instskip(NEXT) | instid1(VALU_DEP_1)
	v_ashrrev_i32_e32 v4, 31, v3
	v_lshlrev_b64 v[4:5], 3, v[3:4]
	s_delay_alu instid0(VALU_DEP_4)
	v_add_f64 v[12:13], v[12:13], -v[32:33]
	s_waitcnt vmcnt(2)
	v_add3_u32 v6, v62, v39, s6
	s_waitcnt vmcnt(1)
	v_add3_u32 v0, v63, v39, s6
	;; [unrolled: 2-line block ×3, first 2 shown]
	v_ashrrev_i32_e32 v7, 31, v6
	s_delay_alu instid0(VALU_DEP_3) | instskip(SKIP_1) | instid1(VALU_DEP_4)
	v_ashrrev_i32_e32 v1, 31, v0
	v_add_nc_u32_e32 v24, s6, v0
	v_ashrrev_i32_e32 v19, 31, v18
	v_add_nc_u32_e32 v30, s6, v18
	v_lshlrev_b64 v[14:15], 3, v[6:7]
	v_lshlrev_b64 v[1:2], 3, v[0:1]
	v_ashrrev_i32_e32 v25, 31, v24
	v_lshlrev_b64 v[22:23], 3, v[18:19]
	v_ashrrev_i32_e32 v31, 31, v30
	s_delay_alu instid0(VALU_DEP_3) | instskip(SKIP_1) | instid1(VALU_DEP_3)
	v_lshlrev_b64 v[25:26], 3, v[24:25]
	v_add_co_u32 v1, vcc_lo, s12, v1
	v_lshlrev_b64 v[18:19], 3, v[30:31]
	v_add_co_ci_u32_e32 v2, vcc_lo, s13, v2, vcc_lo
	v_add_co_u32 v4, vcc_lo, s12, v4
	v_add_co_ci_u32_e32 v5, vcc_lo, s13, v5, vcc_lo
	v_add_co_u32 v14, vcc_lo, s12, v14
	;; [unrolled: 2-line block ×4, first 2 shown]
	v_add_nc_u32_e32 v25, s6, v3
	v_dual_mov_b32 v187, v159 :: v_dual_mov_b32 v186, v158
	v_add_co_ci_u32_e32 v39, vcc_lo, s13, v26, vcc_lo
	s_delay_alu instid0(VALU_DEP_3) | instskip(NEXT) | instid1(VALU_DEP_1)
	v_ashrrev_i32_e32 v26, 31, v25
	v_lshlrev_b64 v[26:27], 3, v[25:26]
	s_delay_alu instid0(VALU_DEP_1) | instskip(SKIP_1) | instid1(VALU_DEP_3)
	v_add_co_u32 v54, vcc_lo, s12, v26
	v_add_nc_u32_e32 v26, s6, v6
	v_add_co_ci_u32_e32 v55, vcc_lo, s13, v27, vcc_lo
	s_delay_alu instid0(VALU_DEP_2) | instskip(NEXT) | instid1(VALU_DEP_1)
	v_ashrrev_i32_e32 v27, 31, v26
	v_lshlrev_b64 v[6:7], 3, v[26:27]
	s_delay_alu instid0(VALU_DEP_1) | instskip(NEXT) | instid1(VALU_DEP_2)
	v_add_co_u32 v6, vcc_lo, s12, v6
	v_add_co_ci_u32_e32 v7, vcc_lo, s13, v7, vcc_lo
	v_add_co_u32 v18, vcc_lo, s12, v18
	v_add_co_ci_u32_e32 v19, vcc_lo, s13, v19, vcc_lo
	s_clause 0x7
	global_load_b64 v[148:149], v[38:39], off
	global_load_b64 v[154:155], v[54:55], off
	;; [unrolled: 1-line block ×8, first 2 shown]
	scratch_load_b32 v4, off, off offset:92 ; 4-byte Folded Reload
	s_waitcnt vmcnt(7)
	v_add_f64 v[6:7], v[148:149], -v[154:155]
	s_waitcnt vmcnt(3)
	v_add_f64 v[0:1], v[150:151], -v[146:147]
	v_add_f64 v[18:19], v[156:157], -v[152:153]
	s_waitcnt vmcnt(1)
	v_add_f64 v[2:3], v[144:145], -v[118:119]
	s_delay_alu instid0(VALU_DEP_4) | instskip(NEXT) | instid1(VALU_DEP_4)
	v_mul_f64 v[6:7], v[6:7], s[0:1]
	v_mul_f64 v[0:1], v[0:1], s[0:1]
	s_delay_alu instid0(VALU_DEP_2) | instskip(SKIP_1) | instid1(VALU_DEP_3)
	v_fma_f64 v[6:7], v[18:19], s[4:5], -v[6:7]
	v_mul_f64 v[18:19], v[40:41], v[16:17]
	v_fma_f64 v[0:1], v[2:3], s[4:5], -v[0:1]
	s_delay_alu instid0(VALU_DEP_2) | instskip(SKIP_2) | instid1(VALU_DEP_2)
	v_mul_f64 v[6:7], v[18:19], v[6:7]
	s_waitcnt vmcnt(0)
	v_mov_b32_e32 v18, v4
	v_mul_f64 v[2:3], v[134:135], v[6:7]
	s_delay_alu instid0(VALU_DEP_2) | instskip(SKIP_1) | instid1(VALU_DEP_2)
	v_add3_u32 v6, v62, v18, s6
	v_add3_u32 v18, v60, v18, s6
	v_ashrrev_i32_e32 v7, 31, v6
	s_delay_alu instid0(VALU_DEP_2) | instskip(SKIP_2) | instid1(VALU_DEP_4)
	v_ashrrev_i32_e32 v19, 31, v18
	v_add_nc_u32_e32 v132, s6, v6
	v_add_nc_u32_e32 v84, s6, v18
	v_lshlrev_b64 v[14:15], 3, v[6:7]
	s_delay_alu instid0(VALU_DEP_4) | instskip(NEXT) | instid1(VALU_DEP_4)
	v_lshlrev_b64 v[22:23], 3, v[18:19]
	v_ashrrev_i32_e32 v133, 31, v132
	s_delay_alu instid0(VALU_DEP_4) | instskip(NEXT) | instid1(VALU_DEP_2)
	v_ashrrev_i32_e32 v85, 31, v84
	v_lshlrev_b64 v[6:7], 3, v[132:133]
	s_delay_alu instid0(VALU_DEP_2) | instskip(SKIP_1) | instid1(VALU_DEP_1)
	v_lshlrev_b64 v[18:19], 3, v[84:85]
	v_mul_f64 v[2:3], v[28:29], v[2:3]
	v_fma_f64 v[36:37], v[36:37], v[0:1], v[2:3]
	v_add3_u32 v0, v63, v4, s6
	v_add3_u32 v3, v61, v4, s6
	s_delay_alu instid0(VALU_DEP_2) | instskip(NEXT) | instid1(VALU_DEP_2)
	v_ashrrev_i32_e32 v1, 31, v0
	v_ashrrev_i32_e32 v4, 31, v3
	v_add_nc_u32_e32 v124, s6, v0
	v_add_nc_u32_e32 v128, s6, v3
	s_delay_alu instid0(VALU_DEP_4) | instskip(NEXT) | instid1(VALU_DEP_4)
	v_lshlrev_b64 v[1:2], 3, v[0:1]
	v_lshlrev_b64 v[4:5], 3, v[3:4]
	s_delay_alu instid0(VALU_DEP_4) | instskip(NEXT) | instid1(VALU_DEP_4)
	v_ashrrev_i32_e32 v125, 31, v124
	v_ashrrev_i32_e32 v129, 31, v128
	s_delay_alu instid0(VALU_DEP_4) | instskip(NEXT) | instid1(VALU_DEP_3)
	v_add_co_u32 v1, vcc_lo, s12, v1
	v_lshlrev_b64 v[38:39], 3, v[124:125]
	s_delay_alu instid0(VALU_DEP_3)
	v_lshlrev_b64 v[40:41], 3, v[128:129]
	v_add_co_ci_u32_e32 v2, vcc_lo, s13, v2, vcc_lo
	v_add_co_u32 v4, vcc_lo, s12, v4
	v_add_co_ci_u32_e32 v5, vcc_lo, s13, v5, vcc_lo
	v_add_co_u32 v14, vcc_lo, s12, v14
	;; [unrolled: 2-line block ×7, first 2 shown]
	v_add_co_ci_u32_e32 v19, vcc_lo, s13, v19, vcc_lo
	s_clause 0x7
	global_load_b64 v[164:165], v[38:39], off
	global_load_b64 v[170:171], v[40:41], off
	global_load_b64 v[172:173], v[6:7], off
	global_load_b64 v[168:169], v[18:19], off
	global_load_b64 v[166:167], v[1:2], off
	global_load_b64 v[162:163], v[4:5], off
	global_load_b64 v[160:161], v[14:15], off
	global_load_b64 v[138:139], v[22:23], off
	scratch_load_b32 v4, off, off offset:152 ; 4-byte Folded Reload
	s_waitcnt vmcnt(7)
	v_add_f64 v[6:7], v[164:165], -v[170:171]
	s_waitcnt vmcnt(3)
	v_add_f64 v[0:1], v[166:167], -v[162:163]
	v_add_f64 v[18:19], v[172:173], -v[168:169]
	s_waitcnt vmcnt(1)
	v_add_f64 v[2:3], v[160:161], -v[138:139]
	s_waitcnt vmcnt(0)
	v_mov_b32_e32 v22, v4
	v_mul_f64 v[6:7], v[6:7], s[0:1]
	v_mul_f64 v[0:1], v[0:1], s[0:1]
	s_delay_alu instid0(VALU_DEP_2) | instskip(SKIP_1) | instid1(VALU_DEP_3)
	v_fma_f64 v[6:7], v[18:19], s[4:5], -v[6:7]
	v_mul_f64 v[18:19], v[126:127], v[8:9]
	v_fma_f64 v[0:1], v[2:3], s[4:5], -v[0:1]
	s_delay_alu instid0(VALU_DEP_2) | instskip(NEXT) | instid1(VALU_DEP_1)
	v_mul_f64 v[6:7], v[18:19], v[6:7]
	v_mul_f64 v[2:3], v[134:135], v[6:7]
	v_add3_u32 v6, v62, v22, s6
	v_add3_u32 v22, v60, v22, s6
	s_delay_alu instid0(VALU_DEP_2) | instskip(SKIP_1) | instid1(VALU_DEP_3)
	v_ashrrev_i32_e32 v7, 31, v6
	v_add_nc_u32_e32 v98, s6, v6
	v_ashrrev_i32_e32 v23, 31, v22
	s_delay_alu instid0(VALU_DEP_3) | instskip(NEXT) | instid1(VALU_DEP_3)
	v_lshlrev_b64 v[14:15], 3, v[6:7]
	v_ashrrev_i32_e32 v99, 31, v98
	s_delay_alu instid0(VALU_DEP_3) | instskip(NEXT) | instid1(VALU_DEP_2)
	v_lshlrev_b64 v[38:39], 3, v[22:23]
	v_lshlrev_b64 v[6:7], 3, v[98:99]
	v_add_nc_u32_e32 v99, s6, v22
	s_delay_alu instid0(VALU_DEP_1) | instskip(NEXT) | instid1(VALU_DEP_1)
	v_ashrrev_i32_e32 v100, 31, v99
	v_lshlrev_b64 v[22:23], 3, v[99:100]
	v_mul_f64 v[2:3], v[28:29], v[2:3]
	s_delay_alu instid0(VALU_DEP_1) | instskip(SKIP_2) | instid1(VALU_DEP_2)
	v_fma_f64 v[18:19], v[88:89], v[0:1], v[2:3]
	v_add3_u32 v0, v63, v4, s6
	v_add3_u32 v3, v61, v4, s6
	v_ashrrev_i32_e32 v1, 31, v0
	v_add_nc_u32_e32 v125, s6, v0
	s_delay_alu instid0(VALU_DEP_3) | instskip(NEXT) | instid1(VALU_DEP_3)
	v_ashrrev_i32_e32 v4, 31, v3
	v_lshlrev_b64 v[1:2], 3, v[0:1]
	s_delay_alu instid0(VALU_DEP_3) | instskip(NEXT) | instid1(VALU_DEP_3)
	v_ashrrev_i32_e32 v126, 31, v125
	v_lshlrev_b64 v[4:5], 3, v[3:4]
	s_delay_alu instid0(VALU_DEP_2) | instskip(SKIP_4) | instid1(VALU_DEP_4)
	v_lshlrev_b64 v[40:41], 3, v[125:126]
	v_add_nc_u32_e32 v126, s6, v3
	v_add_co_u32 v1, vcc_lo, s12, v1
	v_add_co_ci_u32_e32 v2, vcc_lo, s13, v2, vcc_lo
	v_add_co_u32 v4, vcc_lo, s12, v4
	v_ashrrev_i32_e32 v127, 31, v126
	v_add_co_ci_u32_e32 v5, vcc_lo, s13, v5, vcc_lo
	v_add_co_u32 v14, vcc_lo, s12, v14
	v_add_co_ci_u32_e32 v15, vcc_lo, s13, v15, vcc_lo
	v_add_co_u32 v38, vcc_lo, s12, v38
	v_lshlrev_b64 v[54:55], 3, v[126:127]
	v_add_co_ci_u32_e32 v39, vcc_lo, s13, v39, vcc_lo
	v_add_co_u32 v40, vcc_lo, s12, v40
	v_add_co_ci_u32_e32 v41, vcc_lo, s13, v41, vcc_lo
	s_delay_alu instid0(VALU_DEP_4)
	v_add_co_u32 v54, vcc_lo, s12, v54
	v_add_co_ci_u32_e32 v55, vcc_lo, s13, v55, vcc_lo
	v_add_co_u32 v6, vcc_lo, s12, v6
	v_add_co_ci_u32_e32 v7, vcc_lo, s13, v7, vcc_lo
	;; [unrolled: 2-line block ×3, first 2 shown]
	s_clause 0x7
	global_load_b64 v[176:177], v[40:41], off
	global_load_b64 v[40:41], v[54:55], off
	;; [unrolled: 1-line block ×8, first 2 shown]
	scratch_load_b32 v4, off, off offset:64 ; 4-byte Folded Reload
	s_waitcnt vmcnt(7)
	v_add_f64 v[22:23], v[176:177], -v[40:41]
	s_waitcnt vmcnt(3)
	v_add_f64 v[0:1], v[178:179], -v[174:175]
	v_add_f64 v[64:65], v[6:7], -v[54:55]
	s_waitcnt vmcnt(1)
	v_add_f64 v[2:3], v[142:143], -v[140:141]
	s_waitcnt vmcnt(0)
	v_mov_b32_e32 v27, v4
	s_delay_alu instid0(VALU_DEP_1) | instskip(NEXT) | instid1(VALU_DEP_1)
	v_add3_u32 v14, v62, v27, s6
	v_ashrrev_i32_e32 v15, 31, v14
	s_delay_alu instid0(VALU_DEP_1) | instskip(SKIP_2) | instid1(VALU_DEP_2)
	v_lshlrev_b64 v[38:39], 3, v[14:15]
	v_mul_f64 v[22:23], v[22:23], s[0:1]
	v_mul_f64 v[0:1], v[0:1], s[0:1]
	v_fma_f64 v[22:23], v[64:65], s[4:5], -v[22:23]
	s_delay_alu instid0(VALU_DEP_2) | instskip(NEXT) | instid1(VALU_DEP_2)
	v_fma_f64 v[0:1], v[2:3], s[4:5], -v[0:1]
	v_mul_f64 v[22:23], v[58:59], v[22:23]
	v_add3_u32 v58, v60, v27, s6
	s_delay_alu instid0(VALU_DEP_1) | instskip(SKIP_1) | instid1(VALU_DEP_2)
	v_ashrrev_i32_e32 v59, 31, v58
	v_add_nc_u32_e32 v110, s6, v58
	v_lshlrev_b64 v[64:65], 3, v[58:59]
	s_delay_alu instid0(VALU_DEP_2) | instskip(NEXT) | instid1(VALU_DEP_1)
	v_ashrrev_i32_e32 v111, 31, v110
	v_lshlrev_b64 v[58:59], 3, v[110:111]
	v_mul_f64 v[2:3], v[134:135], v[22:23]
	s_delay_alu instid0(VALU_DEP_1) | instskip(NEXT) | instid1(VALU_DEP_1)
	v_mul_f64 v[2:3], v[28:29], v[2:3]
	v_fma_f64 v[22:23], v[130:131], v[0:1], v[2:3]
	v_add3_u32 v0, v63, v4, s6
	v_add3_u32 v3, v61, v4, s6
	s_delay_alu instid0(VALU_DEP_2) | instskip(NEXT) | instid1(VALU_DEP_2)
	v_ashrrev_i32_e32 v1, 31, v0
	v_ashrrev_i32_e32 v4, 31, v3
	v_add_nc_u32_e32 v129, s6, v3
	v_add_nc_u32_e32 v122, s6, v0
	s_delay_alu instid0(VALU_DEP_4) | instskip(NEXT) | instid1(VALU_DEP_4)
	v_lshlrev_b64 v[1:2], 3, v[0:1]
	v_lshlrev_b64 v[4:5], 3, v[3:4]
	s_delay_alu instid0(VALU_DEP_4) | instskip(NEXT) | instid1(VALU_DEP_4)
	v_ashrrev_i32_e32 v130, 31, v129
	v_ashrrev_i32_e32 v123, 31, v122
	s_delay_alu instid0(VALU_DEP_4) | instskip(NEXT) | instid1(VALU_DEP_3)
	v_add_co_u32 v1, vcc_lo, s12, v1
	v_lshlrev_b64 v[88:89], 3, v[129:130]
	v_add_nc_u32_e32 v130, s6, v14
	s_delay_alu instid0(VALU_DEP_4) | instskip(SKIP_2) | instid1(VALU_DEP_4)
	v_lshlrev_b64 v[76:77], 3, v[122:123]
	v_add_co_ci_u32_e32 v2, vcc_lo, s13, v2, vcc_lo
	v_add_co_u32 v4, vcc_lo, s12, v4
	v_ashrrev_i32_e32 v131, 31, v130
	v_add_co_ci_u32_e32 v5, vcc_lo, s13, v5, vcc_lo
	v_add_co_u32 v38, vcc_lo, s12, v38
	v_add_co_ci_u32_e32 v39, vcc_lo, s13, v39, vcc_lo
	v_add_co_u32 v64, vcc_lo, s12, v64
	v_lshlrev_b64 v[14:15], 3, v[130:131]
	v_add_co_ci_u32_e32 v65, vcc_lo, s13, v65, vcc_lo
	v_add_co_u32 v76, vcc_lo, s12, v76
	v_add_co_ci_u32_e32 v77, vcc_lo, s13, v77, vcc_lo
	v_add_co_u32 v88, vcc_lo, s12, v88
	;; [unrolled: 2-line block ×4, first 2 shown]
	v_add_co_ci_u32_e32 v59, vcc_lo, s13, v59, vcc_lo
	s_clause 0x3
	global_load_b64 v[76:77], v[76:77], off
	global_load_b64 v[88:89], v[88:89], off
	;; [unrolled: 1-line block ×4, first 2 shown]
	scratch_load_b64 v[60:61], off, off offset:144 ; 8-byte Folded Reload
	s_clause 0x3
	global_load_b64 v[0:1], v[1:2], off
	global_load_b64 v[2:3], v[4:5], off
	;; [unrolled: 1-line block ×4, first 2 shown]
	scratch_load_b32 v27, off, off offset:96 ; 4-byte Folded Reload
	v_add_nc_u32_e32 v64, s6, v84
	s_delay_alu instid0(VALU_DEP_1) | instskip(NEXT) | instid1(VALU_DEP_1)
	v_ashrrev_i32_e32 v65, 31, v64
	v_lshlrev_b64 v[64:65], 3, v[64:65]
	s_waitcnt vmcnt(8)
	v_add_f64 v[94:95], v[76:77], -v[88:89]
	v_add_f64 v[40:41], v[40:41], -v[88:89]
	s_waitcnt vmcnt(3)
	v_add_f64 v[4:5], v[0:1], -v[2:3]
	v_add_f64 v[0:1], v[178:179], -v[0:1]
	;; [unrolled: 1-line block ×5, first 2 shown]
	s_waitcnt vmcnt(1)
	v_add_f64 v[38:39], v[158:159], -v[120:121]
	v_add_f64 v[54:55], v[54:55], -v[58:59]
	v_mul_f64 v[94:95], v[94:95], s[0:1]
	v_mul_f64 v[4:5], v[4:5], s[0:1]
	s_delay_alu instid0(VALU_DEP_2) | instskip(SKIP_1) | instid1(VALU_DEP_3)
	v_fma_f64 v[94:95], v[102:103], s[4:5], -v[94:95]
	v_mul_f64 v[102:103], v[60:61], v[34:35]
	v_fma_f64 v[4:5], v[38:39], s[4:5], -v[4:5]
	v_add_f64 v[60:61], v[156:157], -v[172:173]
	s_delay_alu instid0(VALU_DEP_3) | instskip(NEXT) | instid1(VALU_DEP_2)
	v_mul_f64 v[94:95], v[102:103], v[94:95]
	v_mul_f64 v[14:15], v[60:61], s[0:1]
	s_delay_alu instid0(VALU_DEP_2) | instskip(NEXT) | instid1(VALU_DEP_2)
	v_mul_f64 v[38:39], v[134:135], v[94:95]
	v_fma_f64 v[6:7], v[6:7], s[4:5], -v[14:15]
	s_delay_alu instid0(VALU_DEP_2) | instskip(NEXT) | instid1(VALU_DEP_1)
	v_mul_f64 v[38:39], v[28:29], v[38:39]
	v_fma_f64 v[4:5], v[42:43], v[4:5], v[38:39]
	s_waitcnt vmcnt(0)
	v_add_nc_u32_e32 v42, s7, v27
	s_delay_alu instid0(VALU_DEP_1) | instskip(NEXT) | instid1(VALU_DEP_1)
	v_ashrrev_i32_e32 v43, 31, v42
	v_lshlrev_b64 v[38:39], 3, v[42:43]
	v_add_nc_u32_e32 v42, s6, v42
	s_delay_alu instid0(VALU_DEP_1) | instskip(NEXT) | instid1(VALU_DEP_3)
	v_ashrrev_i32_e32 v43, 31, v42
	v_add_co_u32 v38, vcc_lo, s18, v38
	s_delay_alu instid0(VALU_DEP_4) | instskip(NEXT) | instid1(VALU_DEP_3)
	v_add_co_ci_u32_e32 v39, vcc_lo, s19, v39, vcc_lo
	v_lshlrev_b64 v[42:43], 3, v[42:43]
	global_load_b64 v[38:39], v[38:39], off
	scratch_load_b64 v[62:63], off, off offset:120 ; 8-byte Folded Reload
	s_waitcnt vmcnt(0)
	v_mul_f64 v[38:39], v[62:63], v[38:39]
	s_delay_alu instid0(VALU_DEP_1) | instskip(SKIP_1) | instid1(VALU_DEP_2)
	v_mul_f64 v[14:15], v[20:21], v[38:39]
	v_add_f64 v[38:39], v[154:155], -v[170:171]
	v_mul_f64 v[6:7], v[6:7], v[14:15]
	scratch_load_b32 v14, off, off offset:128 ; 4-byte Folded Reload
	v_mul_f64 v[38:39], v[38:39], s[0:1]
	v_mul_f64 v[6:7], v[136:137], v[6:7]
	s_delay_alu instid0(VALU_DEP_2) | instskip(NEXT) | instid1(VALU_DEP_2)
	v_fma_f64 v[38:39], v[40:41], s[4:5], -v[38:39]
	v_mul_f64 v[6:7], v[28:29], v[6:7]
	s_waitcnt vmcnt(0)
	v_add_nc_u32_e32 v104, s7, v14
	s_delay_alu instid0(VALU_DEP_1) | instskip(NEXT) | instid1(VALU_DEP_1)
	v_ashrrev_i32_e32 v105, 31, v104
	v_lshlrev_b64 v[14:15], 3, v[104:105]
	s_delay_alu instid0(VALU_DEP_1) | instskip(NEXT) | instid1(VALU_DEP_2)
	v_add_co_u32 v14, vcc_lo, s18, v14
	v_add_co_ci_u32_e32 v15, vcc_lo, s19, v15, vcc_lo
	global_load_b64 v[14:15], v[14:15], off
	s_clause 0x1
	scratch_load_b64 v[60:61], off, off offset:84
	scratch_load_b32 v27, off, off offset:100
	s_waitcnt vmcnt(1)
	v_mul_f64 v[14:15], v[60:61], v[14:15]
	s_waitcnt vmcnt(0)
	v_add_nc_u32_e32 v102, s7, v27
	s_delay_alu instid0(VALU_DEP_1) | instskip(NEXT) | instid1(VALU_DEP_1)
	v_ashrrev_i32_e32 v103, 31, v102
	v_lshlrev_b64 v[40:41], 3, v[102:103]
	v_add_nc_u32_e32 v103, s6, v130
	s_delay_alu instid0(VALU_DEP_2) | instskip(NEXT) | instid1(VALU_DEP_3)
	v_add_co_u32 v40, vcc_lo, s18, v40
	v_add_co_ci_u32_e32 v41, vcc_lo, s19, v41, vcc_lo
	global_load_b64 v[40:41], v[40:41], off
	s_clause 0x1
	scratch_load_b64 v[60:61], off, off offset:76
	scratch_load_b32 v27, off, off offset:140
	v_mul_f64 v[14:15], v[44:45], v[14:15]
	s_delay_alu instid0(VALU_DEP_1) | instskip(SKIP_1) | instid1(VALU_DEP_1)
	v_mul_f64 v[14:15], v[38:39], v[14:15]
	v_add_f64 v[38:39], v[152:153], -v[168:169]
	v_mul_f64 v[38:39], v[38:39], s[0:1]
	s_delay_alu instid0(VALU_DEP_1) | instskip(SKIP_1) | instid1(VALU_DEP_1)
	v_fma_f64 v[38:39], v[54:55], s[4:5], -v[38:39]
	v_add_f64 v[54:55], v[150:151], -v[166:167]
	v_mul_f64 v[54:55], v[54:55], s[0:1]
	s_delay_alu instid0(VALU_DEP_1)
	v_fma_f64 v[0:1], v[0:1], s[4:5], -v[54:55]
	s_waitcnt vmcnt(1)
	v_mul_f64 v[40:41], v[60:61], v[40:41]
	scratch_load_b128 v[58:61], off, off offset:104 ; 16-byte Folded Reload
	s_waitcnt vmcnt(1)
	v_add_nc_u32_e32 v100, s7, v27
	s_delay_alu instid0(VALU_DEP_1) | instskip(SKIP_2) | instid1(VALU_DEP_1)
	v_ashrrev_i32_e32 v101, 31, v100
	v_add_nc_u32_e32 v105, s6, v100
	v_mul_f64 v[40:41], v[46:47], v[40:41]
	v_mul_f64 v[38:39], v[38:39], v[40:41]
	s_waitcnt vmcnt(0)
	s_delay_alu instid0(VALU_DEP_1) | instskip(SKIP_3) | instid1(VALU_DEP_1)
	v_mul_f64 v[152:153], v[60:61], v[38:39]
	v_mul_f64 v[14:15], v[58:59], v[14:15]
	v_add_f64 v[58:59], v[148:149], -v[164:165]
	v_lshlrev_b64 v[38:39], 3, v[100:101]
	v_add_co_u32 v38, vcc_lo, s18, v38
	s_delay_alu instid0(VALU_DEP_2)
	v_add_co_ci_u32_e32 v39, vcc_lo, s19, v39, vcc_lo
	v_add_co_u32 v40, vcc_lo, s18, v116
	v_add_co_ci_u32_e32 v41, vcc_lo, s19, v117, vcc_lo
	global_load_b64 v[38:39], v[38:39], off
	scratch_load_b64 v[60:61], off, off offset:132 ; 8-byte Folded Reload
	global_load_b64 v[40:41], v[40:41], off
	v_mul_f64 v[14:15], v[28:29], v[14:15]
	v_mul_f64 v[58:59], v[58:59], s[0:1]
	s_waitcnt vmcnt(1)
	v_mul_f64 v[38:39], v[60:61], v[38:39]
	v_add_f64 v[60:61], v[176:177], -v[76:77]
	v_mul_f64 v[76:77], v[186:187], v[90:91]
	s_waitcnt vmcnt(0)
	v_mul_f64 v[40:41], v[82:83], v[40:41]
	s_delay_alu instid0(VALU_DEP_4) | instskip(NEXT) | instid1(VALU_DEP_4)
	v_mul_f64 v[38:39], v[80:81], v[38:39]
	v_fma_f64 v[58:59], v[60:61], s[4:5], -v[58:59]
	v_add_nc_u32_e32 v60, s6, v132
	s_delay_alu instid0(VALU_DEP_4) | instskip(NEXT) | instid1(VALU_DEP_2)
	v_mul_f64 v[40:41], v[80:81], v[40:41]
	v_ashrrev_i32_e32 v61, 31, v60
	s_delay_alu instid0(VALU_DEP_1) | instskip(SKIP_2) | instid1(VALU_DEP_1)
	v_lshlrev_b64 v[60:61], 3, v[60:61]
	v_mul_f64 v[38:39], v[58:59], v[38:39]
	v_add_nc_u32_e32 v58, s6, v128
	v_ashrrev_i32_e32 v59, 31, v58
	s_delay_alu instid0(VALU_DEP_1) | instskip(NEXT) | instid1(VALU_DEP_4)
	v_lshlrev_b64 v[58:59], 3, v[58:59]
	v_mul_f64 v[38:39], v[112:113], v[38:39]
	v_dual_mov_b32 v112, v107 :: v_dual_mov_b32 v111, v106
	v_add_nc_u32_e32 v107, s6, v110
	v_ashrrev_i32_e32 v106, 31, v105
	s_delay_alu instid0(VALU_DEP_2) | instskip(NEXT) | instid1(VALU_DEP_2)
	v_ashrrev_i32_e32 v108, 31, v107
	v_lshlrev_b64 v[105:106], 3, v[105:106]
	s_delay_alu instid0(VALU_DEP_2) | instskip(SKIP_1) | instid1(VALU_DEP_1)
	v_lshlrev_b64 v[107:108], 3, v[107:108]
	v_mul_f64 v[38:39], v[28:29], v[38:39]
	v_fma_f64 v[0:1], v[0:1], v[40:41], v[38:39]
	scratch_load_b64 v[40:41], off, off offset:68 ; 8-byte Folded Reload
	v_add_f64 v[38:39], v[146:147], -v[162:163]
	s_delay_alu instid0(VALU_DEP_1) | instskip(NEXT) | instid1(VALU_DEP_1)
	v_mul_f64 v[38:39], v[38:39], s[0:1]
	v_fma_f64 v[2:3], v[2:3], s[4:5], -v[38:39]
	s_waitcnt vmcnt(0)
	v_add_co_u32 v40, vcc_lo, s18, v40
	v_add_co_ci_u32_e32 v41, vcc_lo, s19, v41, vcc_lo
	global_load_b64 v[38:39], v[40:41], off
	v_add_f64 v[40:41], v[142:143], -v[158:159]
	s_waitcnt vmcnt(0)
	v_mul_f64 v[38:39], v[66:67], v[38:39]
	s_delay_alu instid0(VALU_DEP_1) | instskip(NEXT) | instid1(VALU_DEP_1)
	v_mul_f64 v[38:39], v[44:45], v[38:39]
	v_fma_f64 v[2:3], v[2:3], v[38:39], v[14:15]
	scratch_load_b64 v[38:39], off, off offset:276 ; 8-byte Folded Reload
	v_add_f64 v[14:15], v[144:145], -v[160:161]
	s_delay_alu instid0(VALU_DEP_1) | instskip(NEXT) | instid1(VALU_DEP_1)
	v_mul_f64 v[14:15], v[14:15], s[0:1]
	v_fma_f64 v[14:15], v[40:41], s[4:5], -v[14:15]
	v_add_f64 v[40:41], v[140:141], -v[120:121]
	s_waitcnt vmcnt(0)
	v_add_co_u32 v38, vcc_lo, s18, v38
	v_add_co_ci_u32_e32 v39, vcc_lo, s19, v39, vcc_lo
	global_load_b64 v[38:39], v[38:39], off
	s_waitcnt vmcnt(0)
	v_mul_f64 v[38:39], v[111:112], v[38:39]
	s_delay_alu instid0(VALU_DEP_1) | instskip(NEXT) | instid1(VALU_DEP_1)
	v_mul_f64 v[38:39], v[20:21], v[38:39]
	v_fma_f64 v[6:7], v[14:15], v[38:39], v[6:7]
	scratch_load_b64 v[38:39], off, off offset:56 ; 8-byte Folded Reload
	v_add_f64 v[14:15], v[118:119], -v[138:139]
	s_delay_alu instid0(VALU_DEP_1) | instskip(NEXT) | instid1(VALU_DEP_1)
	v_mul_f64 v[14:15], v[14:15], s[0:1]
	v_fma_f64 v[14:15], v[40:41], s[4:5], -v[14:15]
	v_mul_f64 v[40:41], v[28:29], v[152:153]
	s_waitcnt vmcnt(0)
	v_add_co_u32 v38, vcc_lo, s18, v38
	v_add_co_ci_u32_e32 v39, vcc_lo, s19, v39, vcc_lo
	global_load_b64 v[38:39], v[38:39], off
	s_waitcnt vmcnt(0)
	v_mul_f64 v[38:39], v[74:75], v[38:39]
	s_delay_alu instid0(VALU_DEP_1) | instskip(NEXT) | instid1(VALU_DEP_1)
	v_mul_f64 v[38:39], v[46:47], v[38:39]
	v_fma_f64 v[86:87], v[14:15], v[38:39], v[40:41]
	v_mul_f64 v[14:15], v[50:51], v[96:97]
	v_add_nc_u32_e32 v38, s6, v104
	v_add_nc_u32_e32 v40, s6, v102
	v_add_nc_u32_e32 v96, s6, v99
	v_ashrrev_i32_e32 v104, 31, v103
	s_delay_alu instid0(VALU_DEP_4) | instskip(NEXT) | instid1(VALU_DEP_4)
	v_ashrrev_i32_e32 v39, 31, v38
	v_ashrrev_i32_e32 v41, 31, v40
	s_delay_alu instid0(VALU_DEP_4) | instskip(NEXT) | instid1(VALU_DEP_4)
	v_ashrrev_i32_e32 v97, 31, v96
	v_lshlrev_b64 v[103:104], 3, v[103:104]
	s_delay_alu instid0(VALU_DEP_4) | instskip(NEXT) | instid1(VALU_DEP_4)
	v_lshlrev_b64 v[38:39], 3, v[38:39]
	v_lshlrev_b64 v[40:41], 3, v[40:41]
	s_delay_alu instid0(VALU_DEP_4) | instskip(NEXT) | instid1(VALU_DEP_3)
	v_lshlrev_b64 v[96:97], 3, v[96:97]
	v_add_co_u32 v38, vcc_lo, s18, v38
	s_delay_alu instid0(VALU_DEP_4) | instskip(NEXT) | instid1(VALU_DEP_4)
	v_add_co_ci_u32_e32 v39, vcc_lo, s19, v39, vcc_lo
	v_add_co_u32 v40, vcc_lo, s18, v40
	v_add_co_ci_u32_e32 v41, vcc_lo, s19, v41, vcc_lo
	v_mul_f64 v[88:89], v[14:15], v[16:17]
	v_add_nc_u32_e32 v14, s6, v24
	v_add_nc_u32_e32 v16, s6, v25
	;; [unrolled: 1-line block ×4, first 2 shown]
	v_mul_f64 v[30:31], v[114:115], v[92:93]
	v_ashrrev_i32_e32 v15, 31, v14
	v_ashrrev_i32_e32 v17, 31, v16
	;; [unrolled: 1-line block ×4, first 2 shown]
	s_delay_alu instid0(VALU_DEP_4) | instskip(NEXT) | instid1(VALU_DEP_4)
	v_lshlrev_b64 v[14:15], 3, v[14:15]
	v_lshlrev_b64 v[16:17], 3, v[16:17]
	s_delay_alu instid0(VALU_DEP_4) | instskip(NEXT) | instid1(VALU_DEP_4)
	v_lshlrev_b64 v[24:25], 3, v[24:25]
	v_lshlrev_b64 v[26:27], 3, v[26:27]
	s_delay_alu instid0(VALU_DEP_4)
	v_add_co_u32 v14, vcc_lo, s12, v14
	v_add_co_ci_u32_e32 v15, vcc_lo, s13, v15, vcc_lo
	v_add_co_u32 v16, vcc_lo, s12, v16
	v_add_co_ci_u32_e32 v17, vcc_lo, s13, v17, vcc_lo
	;; [unrolled: 2-line block ×4, first 2 shown]
	s_clause 0x3
	global_load_b64 v[14:15], v[14:15], off
	global_load_b64 v[16:17], v[16:17], off
	;; [unrolled: 1-line block ×4, first 2 shown]
	s_waitcnt vmcnt(2)
	v_add_f64 v[24:25], v[14:15], -v[16:17]
	s_waitcnt vmcnt(0)
	v_add_f64 v[26:27], v[54:55], -v[62:63]
	s_delay_alu instid0(VALU_DEP_2) | instskip(NEXT) | instid1(VALU_DEP_1)
	v_mul_f64 v[24:25], v[24:25], s[0:1]
	v_fma_f64 v[24:25], v[26:27], s[4:5], -v[24:25]
	v_mul_f64 v[26:27], v[30:31], v[8:9]
	v_add_nc_u32_e32 v30, s6, v124
	s_delay_alu instid0(VALU_DEP_1) | instskip(NEXT) | instid1(VALU_DEP_1)
	v_ashrrev_i32_e32 v31, 31, v30
	v_lshlrev_b64 v[30:31], 3, v[30:31]
	s_delay_alu instid0(VALU_DEP_1) | instskip(NEXT) | instid1(VALU_DEP_2)
	v_add_co_u32 v30, vcc_lo, s12, v30
	v_add_co_ci_u32_e32 v31, vcc_lo, s13, v31, vcc_lo
	v_add_co_u32 v58, vcc_lo, s12, v58
	v_add_co_ci_u32_e32 v59, vcc_lo, s13, v59, vcc_lo
	;; [unrolled: 2-line block ×4, first 2 shown]
	s_clause 0x3
	global_load_b64 v[90:91], v[30:31], off
	global_load_b64 v[92:93], v[58:59], off
	;; [unrolled: 1-line block ×4, first 2 shown]
	v_add_nc_u32_e32 v60, s6, v126
	scratch_load_b64 v[8:9], off, off offset:204 ; 8-byte Folded Reload
	v_mul_f64 v[24:25], v[88:89], v[24:25]
	v_ashrrev_i32_e32 v61, 31, v60
	s_delay_alu instid0(VALU_DEP_1) | instskip(NEXT) | instid1(VALU_DEP_3)
	v_lshlrev_b64 v[60:61], 3, v[60:61]
	v_fma_f64 v[24:25], v[28:29], v[24:25], v[36:37]
	s_waitcnt vmcnt(4)
	v_add_f64 v[14:15], v[14:15], -v[90:91]
	s_waitcnt vmcnt(3)
	v_add_f64 v[30:31], v[90:91], -v[92:93]
	v_add_f64 v[16:17], v[16:17], -v[92:93]
	s_waitcnt vmcnt(2)
	v_add_f64 v[54:55], v[54:55], -v[94:95]
	s_waitcnt vmcnt(1)
	v_add_f64 v[58:59], v[94:95], -v[64:65]
	s_waitcnt vmcnt(0)
	v_mul_f64 v[84:85], v[68:69], v[8:9]
	v_add_f64 v[62:63], v[62:63], -v[64:65]
	v_mul_f64 v[14:15], v[14:15], s[0:1]
	v_mul_f64 v[30:31], v[30:31], s[0:1]
	;; [unrolled: 1-line block ×5, first 2 shown]
	v_add_nc_u32_e32 v84, s6, v122
	v_mul_f64 v[62:63], v[62:63], s[0:1]
	s_delay_alu instid0(VALU_DEP_2) | instskip(NEXT) | instid1(VALU_DEP_1)
	v_ashrrev_i32_e32 v85, 31, v84
	v_lshlrev_b64 v[84:85], 3, v[84:85]
	v_fma_f64 v[30:31], v[58:59], s[4:5], -v[30:31]
	v_mul_f64 v[58:59], v[76:77], v[56:57]
	v_add_nc_u32_e32 v56, s6, v125
	v_add_nc_u32_e32 v76, s6, v98
	s_delay_alu instid0(VALU_DEP_2) | instskip(NEXT) | instid1(VALU_DEP_2)
	v_ashrrev_i32_e32 v57, 31, v56
	v_ashrrev_i32_e32 v77, 31, v76
	s_delay_alu instid0(VALU_DEP_2) | instskip(NEXT) | instid1(VALU_DEP_2)
	v_lshlrev_b64 v[56:57], 3, v[56:57]
	v_lshlrev_b64 v[76:77], 3, v[76:77]
	s_delay_alu instid0(VALU_DEP_2) | instskip(NEXT) | instid1(VALU_DEP_3)
	v_add_co_u32 v56, vcc_lo, s12, v56
	v_add_co_ci_u32_e32 v57, vcc_lo, s13, v57, vcc_lo
	v_add_co_u32 v60, vcc_lo, s12, v60
	v_add_co_ci_u32_e32 v61, vcc_lo, s13, v61, vcc_lo
	;; [unrolled: 2-line block ×4, first 2 shown]
	v_add_co_u32 v84, vcc_lo, s12, v84
	s_clause 0x3
	global_load_b64 v[98:99], v[56:57], off
	global_load_b64 v[101:102], v[60:61], off
	;; [unrolled: 1-line block ×4, first 2 shown]
	v_add_co_ci_u32_e32 v85, vcc_lo, s13, v85, vcc_lo
	v_mul_f64 v[26:27], v[26:27], v[30:31]
	s_delay_alu instid0(VALU_DEP_1) | instskip(SKIP_4) | instid1(VALU_DEP_2)
	v_fma_f64 v[18:19], v[28:29], v[26:27], v[18:19]
	s_waitcnt vmcnt(2)
	v_add_f64 v[56:57], v[98:99], -v[101:102]
	s_waitcnt vmcnt(0)
	v_add_f64 v[96:97], v[76:77], -v[60:61]
	v_mul_f64 v[56:57], v[56:57], s[0:1]
	s_delay_alu instid0(VALU_DEP_1) | instskip(SKIP_1) | instid1(VALU_DEP_1)
	v_fma_f64 v[56:57], v[96:97], s[4:5], -v[56:57]
	v_add_nc_u32_e32 v96, s6, v129
	v_ashrrev_i32_e32 v97, 31, v96
	s_delay_alu instid0(VALU_DEP_1) | instskip(NEXT) | instid1(VALU_DEP_1)
	v_lshlrev_b64 v[96:97], 3, v[96:97]
	v_add_co_u32 v96, vcc_lo, s12, v96
	s_delay_alu instid0(VALU_DEP_2)
	v_add_co_ci_u32_e32 v97, vcc_lo, s13, v97, vcc_lo
	v_add_co_u32 v103, vcc_lo, s12, v103
	v_add_co_ci_u32_e32 v104, vcc_lo, s13, v104, vcc_lo
	v_add_co_u32 v105, vcc_lo, s18, v105
	v_add_co_ci_u32_e32 v106, vcc_lo, s19, v106, vcc_lo
	v_add_co_u32 v107, vcc_lo, s12, v107
	v_add_co_ci_u32_e32 v108, vcc_lo, s13, v108, vcc_lo
	v_add_co_u32 v42, vcc_lo, s18, v42
	global_load_b64 v[105:106], v[105:106], off
	s_clause 0x3
	global_load_b64 v[109:110], v[84:85], off
	global_load_b64 v[96:97], v[96:97], off
	;; [unrolled: 1-line block ×4, first 2 shown]
	s_clause 0x1
	global_load_b64 v[38:39], v[38:39], off
	global_load_b64 v[40:41], v[40:41], off
	v_add_co_ci_u32_e32 v43, vcc_lo, s19, v43, vcc_lo
	v_mul_f64 v[30:31], v[58:59], v[56:57]
	global_load_b64 v[42:43], v[42:43], off
	v_fma_f64 v[22:23], v[28:29], v[30:31], v[22:23]
	s_waitcnt vmcnt(6)
	v_add_f64 v[90:91], v[98:99], -v[109:110]
	s_waitcnt vmcnt(5)
	v_add_f64 v[68:69], v[101:102], -v[96:97]
	;; [unrolled: 2-line block ×3, first 2 shown]
	v_mul_f64 v[105:106], v[82:83], v[105:106]
	s_waitcnt vmcnt(2)
	v_mul_f64 v[38:39], v[66:67], v[38:39]
	v_add_f64 v[60:61], v[60:61], -v[84:85]
	v_add_f64 v[82:83], v[109:110], -v[96:97]
	v_add_f64 v[107:108], v[103:104], -v[84:85]
	s_waitcnt vmcnt(1)
	v_mul_f64 v[40:41], v[74:75], v[40:41]
	s_waitcnt vmcnt(0)
	v_mul_f64 v[42:43], v[111:112], v[42:43]
	v_fma_f64 v[14:15], v[90:91], s[4:5], -v[14:15]
	v_fma_f64 v[16:17], v[68:69], s[4:5], -v[16:17]
	;; [unrolled: 1-line block ×3, first 2 shown]
	v_mul_f64 v[80:81], v[80:81], v[105:106]
	v_mul_f64 v[38:39], v[44:45], v[38:39]
	v_fma_f64 v[60:61], v[60:61], s[4:5], -v[62:63]
	v_mul_f64 v[82:83], v[82:83], s[0:1]
	v_mul_f64 v[40:41], v[46:47], v[40:41]
	;; [unrolled: 1-line block ×3, first 2 shown]
	v_add_f64 v[20:21], v[48:49], -v[184:185]
	v_mul_f64 v[14:15], v[14:15], v[80:81]
	v_mul_f64 v[16:17], v[16:17], v[38:39]
	v_fma_f64 v[82:83], v[107:108], s[4:5], -v[82:83]
	v_mul_f64 v[40:41], v[60:61], v[40:41]
	v_mul_f64 v[38:39], v[54:55], v[42:43]
	s_clause 0x2
	scratch_load_b64 v[42:43], off, off offset:32
	scratch_load_b64 v[44:45], off, off offset:48
	;; [unrolled: 1-line block ×3, first 2 shown]
	v_fma_f64 v[0:1], v[28:29], v[14:15], v[0:1]
	v_fma_f64 v[2:3], v[28:29], v[16:17], v[2:3]
	scratch_load_b64 v[16:17], off, off offset:40 ; 8-byte Folded Reload
	v_mul_f64 v[34:35], v[34:35], v[82:83]
	v_fma_f64 v[14:15], v[28:29], v[40:41], v[86:87]
	v_fma_f64 v[6:7], v[28:29], v[38:39], v[6:7]
	v_add_f64 v[0:1], v[0:1], -v[2:3]
	s_delay_alu instid0(VALU_DEP_4) | instskip(NEXT) | instid1(VALU_DEP_3)
	v_fma_f64 v[4:5], v[28:29], v[34:35], v[4:5]
	v_add_f64 v[2:3], v[6:7], -v[14:15]
	s_delay_alu instid0(VALU_DEP_3) | instskip(NEXT) | instid1(VALU_DEP_3)
	v_mul_f64 v[0:1], v[0:1], s[0:1]
	v_add_f64 v[4:5], v[22:23], -v[4:5]
	s_delay_alu instid0(VALU_DEP_2)
	v_fma_f64 v[0:1], v[2:3], s[4:5], -v[0:1]
	scratch_load_b64 v[2:3], off, off       ; 8-byte Folded Reload
	s_waitcnt vmcnt(3)
	v_fma_f64 v[42:43], v[28:29], v[44:45], v[42:43]
	s_waitcnt vmcnt(1)
	v_mul_f64 v[16:17], v[16:17], s[0:1]
	s_delay_alu instid0(VALU_DEP_1) | instskip(SKIP_1) | instid1(VALU_DEP_2)
	v_fma_f64 v[16:17], v[8:9], s[4:5], -v[16:17]
	v_mul_f64 v[8:9], v[70:71], s[0:1]
	v_add_f64 v[16:17], v[42:43], v[16:17]
	s_delay_alu instid0(VALU_DEP_2) | instskip(SKIP_3) | instid1(VALU_DEP_2)
	v_fma_f64 v[8:9], v[10:11], s[4:5], -v[8:9]
	v_add_f64 v[10:11], v[78:79], -v[72:73]
	s_waitcnt vmcnt(0)
	v_add_co_u32 v2, vcc_lo, s2, v2
	v_mul_f64 v[10:11], v[10:11], s[0:1]
	s_delay_alu instid0(VALU_DEP_4) | instskip(SKIP_2) | instid1(VALU_DEP_4)
	v_add_f64 v[8:9], v[8:9], v[16:17]
	v_add_f64 v[16:17], v[52:53], -v[180:181]
	v_add_co_ci_u32_e32 v3, vcc_lo, s3, v3, vcc_lo
	v_fma_f64 v[10:11], v[20:21], s[4:5], -v[10:11]
	s_delay_alu instid0(VALU_DEP_1) | instskip(NEXT) | instid1(VALU_DEP_4)
	v_add_f64 v[8:9], v[8:9], v[10:11]
	v_mul_f64 v[10:11], v[16:17], s[0:1]
	s_delay_alu instid0(VALU_DEP_1) | instskip(SKIP_1) | instid1(VALU_DEP_2)
	v_fma_f64 v[10:11], v[12:13], s[4:5], -v[10:11]
	v_add_f64 v[12:13], v[24:25], -v[18:19]
	v_add_f64 v[8:9], v[8:9], v[10:11]
	s_delay_alu instid0(VALU_DEP_2) | instskip(NEXT) | instid1(VALU_DEP_1)
	v_mul_f64 v[10:11], v[12:13], s[0:1]
	v_fma_f64 v[4:5], v[4:5], s[4:5], -v[10:11]
	s_delay_alu instid0(VALU_DEP_1) | instskip(NEXT) | instid1(VALU_DEP_1)
	v_add_f64 v[4:5], v[8:9], v[4:5]
	v_add_f64 v[0:1], v[4:5], v[0:1]
	global_load_b64 v[4:5], v[2:3], off
	s_clause 0x2
	scratch_load_b64 v[6:7], off, off offset:8
	scratch_load_b64 v[8:9], off, off offset:16
	;; [unrolled: 1-line block ×3, first 2 shown]
	v_mul_f64 v[0:1], v[0:1], s[10:11]
	s_waitcnt vmcnt(0)
	v_div_fixup_f64 v[6:7], v[10:11], v[8:9], v[6:7]
	s_delay_alu instid0(VALU_DEP_1) | instskip(NEXT) | instid1(VALU_DEP_1)
	v_mul_f64 v[0:1], v[6:7], v[0:1]
	v_fma_f64 v[0:1], v[4:5], s[8:9], v[0:1]
	global_store_b64 v[2:3], v[0:1], off
.LBB2_2:
	s_endpgm
	.section	.rodata,"a",@progbits
	.p2align	6, 0x0
	.amdhsa_kernel _Z7kernel3iiiiiiiiiiiiddPKdS0_S0_S0_S0_PdS0_S0_S0_S0_S0_S0_S0_
		.amdhsa_group_segment_fixed_size 0
		.amdhsa_private_segment_fixed_size 344
		.amdhsa_kernarg_size 424
		.amdhsa_user_sgpr_count 13
		.amdhsa_user_sgpr_dispatch_ptr 0
		.amdhsa_user_sgpr_queue_ptr 0
		.amdhsa_user_sgpr_kernarg_segment_ptr 1
		.amdhsa_user_sgpr_dispatch_id 0
		.amdhsa_user_sgpr_private_segment_size 0
		.amdhsa_wavefront_size32 1
		.amdhsa_uses_dynamic_stack 0
		.amdhsa_enable_private_segment 1
		.amdhsa_system_sgpr_workgroup_id_x 1
		.amdhsa_system_sgpr_workgroup_id_y 1
		.amdhsa_system_sgpr_workgroup_id_z 1
		.amdhsa_system_sgpr_workgroup_info 0
		.amdhsa_system_vgpr_workitem_id 2
		.amdhsa_next_free_vgpr 192
		.amdhsa_next_free_sgpr 28
		.amdhsa_reserve_vcc 1
		.amdhsa_float_round_mode_32 0
		.amdhsa_float_round_mode_16_64 0
		.amdhsa_float_denorm_mode_32 3
		.amdhsa_float_denorm_mode_16_64 3
		.amdhsa_dx10_clamp 1
		.amdhsa_ieee_mode 1
		.amdhsa_fp16_overflow 0
		.amdhsa_workgroup_processor_mode 1
		.amdhsa_memory_ordered 1
		.amdhsa_forward_progress 0
		.amdhsa_shared_vgpr_count 0
		.amdhsa_exception_fp_ieee_invalid_op 0
		.amdhsa_exception_fp_denorm_src 0
		.amdhsa_exception_fp_ieee_div_zero 0
		.amdhsa_exception_fp_ieee_overflow 0
		.amdhsa_exception_fp_ieee_underflow 0
		.amdhsa_exception_fp_ieee_inexact 0
		.amdhsa_exception_int_div_zero 0
	.end_amdhsa_kernel
	.text
.Lfunc_end2:
	.size	_Z7kernel3iiiiiiiiiiiiddPKdS0_S0_S0_S0_PdS0_S0_S0_S0_S0_S0_S0_, .Lfunc_end2-_Z7kernel3iiiiiiiiiiiiddPKdS0_S0_S0_S0_PdS0_S0_S0_S0_S0_S0_S0_
                                        ; -- End function
	.section	.AMDGPU.csdata,"",@progbits
; Kernel info:
; codeLenInByte = 13512
; NumSgprs: 30
; NumVgprs: 192
; ScratchSize: 344
; MemoryBound: 0
; FloatMode: 240
; IeeeMode: 1
; LDSByteSize: 0 bytes/workgroup (compile time only)
; SGPRBlocks: 3
; VGPRBlocks: 23
; NumSGPRsForWavesPerEU: 30
; NumVGPRsForWavesPerEU: 192
; Occupancy: 8
; WaveLimiterHint : 0
; COMPUTE_PGM_RSRC2:SCRATCH_EN: 1
; COMPUTE_PGM_RSRC2:USER_SGPR: 13
; COMPUTE_PGM_RSRC2:TRAP_HANDLER: 0
; COMPUTE_PGM_RSRC2:TGID_X_EN: 1
; COMPUTE_PGM_RSRC2:TGID_Y_EN: 1
; COMPUTE_PGM_RSRC2:TGID_Z_EN: 1
; COMPUTE_PGM_RSRC2:TIDIG_COMP_CNT: 2
	.text
	.protected	_Z7kernel4iiiiiiiiiiiiddPKdS0_S0_S0_S0_PdS0_S0_S0_S0_S0_S0_S0_ ; -- Begin function _Z7kernel4iiiiiiiiiiiiddPKdS0_S0_S0_S0_PdS0_S0_S0_S0_S0_S0_S0_
	.globl	_Z7kernel4iiiiiiiiiiiiddPKdS0_S0_S0_S0_PdS0_S0_S0_S0_S0_S0_S0_
	.p2align	8
	.type	_Z7kernel4iiiiiiiiiiiiddPKdS0_S0_S0_S0_PdS0_S0_S0_S0_S0_S0_S0_,@function
_Z7kernel4iiiiiiiiiiiiddPKdS0_S0_S0_S0_PdS0_S0_S0_S0_S0_S0_S0_: ; @_Z7kernel4iiiiiiiiiiiiddPKdS0_S0_S0_S0_PdS0_S0_S0_S0_S0_S0_S0_
; %bb.0:
	s_clause 0x1
	s_load_b64 s[2:3], s[0:1], 0xb4
	s_load_b256 s[16:23], s[0:1], 0x0
	v_and_b32_e32 v1, 0x3ff, v0
	v_bfe_u32 v2, v0, 10, 10
	v_bfe_u32 v0, v0, 20, 10
	s_waitcnt lgkmcnt(0)
	s_and_b32 s4, s2, 0xffff
	s_lshr_b32 s2, s2, 16
	s_and_b32 s3, s3, 0xffff
	s_mul_i32 s13, s13, s4
	s_mul_i32 s14, s14, s2
	;; [unrolled: 1-line block ×3, first 2 shown]
	v_add3_u32 v20, s13, s16, v1
	v_add3_u32 v22, s14, s18, v2
	;; [unrolled: 1-line block ×3, first 2 shown]
	s_delay_alu instid0(VALU_DEP_3) | instskip(NEXT) | instid1(VALU_DEP_3)
	v_cmp_gt_i32_e32 vcc_lo, s17, v20
	v_cmp_gt_i32_e64 s2, s19, v22
	s_delay_alu instid0(VALU_DEP_3) | instskip(NEXT) | instid1(VALU_DEP_2)
	v_cmp_gt_i32_e64 s3, s21, v50
	s_and_b32 s2, vcc_lo, s2
	s_delay_alu instid0(VALU_DEP_1) | instid1(SALU_CYCLE_1)
	s_and_b32 s2, s2, s3
	s_delay_alu instid0(SALU_CYCLE_1)
	s_and_saveexec_b32 s3, s2
	s_cbranch_execz .LBB3_2
; %bb.1:
	s_clause 0x3
	s_load_b128 s[24:27], s[0:1], 0x98
	s_load_b128 s[16:19], s[0:1], 0x60
	s_load_b256 s[8:15], s[0:1], 0x40
	s_load_b256 s[0:7], s[0:1], 0x20
	v_subrev_nc_u32_e32 v0, s22, v20
	s_sub_i32 s20, s23, s22
	v_add_nc_u32_e32 v3, -2, v20
	s_not_b32 s21, s20
	s_add_i32 s20, s20, 1
	v_ashrrev_i32_e32 v1, 31, v0
	s_delay_alu instid0(VALU_DEP_1) | instskip(SKIP_1) | instid1(VALU_DEP_1)
	v_lshlrev_b64 v[0:1], 3, v[0:1]
	s_waitcnt lgkmcnt(0)
	v_add_co_u32 v0, vcc_lo, s24, v0
	s_delay_alu instid0(VALU_DEP_2)
	v_add_co_ci_u32_e32 v1, vcc_lo, s25, v1, vcc_lo
	s_mul_i32 s21, s21, s0
	s_clause 0x2
	global_load_b64 v[52:53], v[0:1], off offset:16
	global_load_b128 v[12:15], v[0:1], off
	global_load_b128 v[8:11], v[0:1], off offset:-16
	v_subrev_nc_u32_e32 v0, s0, v22
	s_sub_i32 s0, s1, s0
	s_sub_i32 s1, s3, s2
	s_add_i32 s23, s0, 1
	s_mov_b32 s3, 0x3fe55555
	v_ashrrev_i32_e32 v1, 31, v0
	s_mul_i32 s23, s23, s20
	s_delay_alu instid0(SALU_CYCLE_1) | instskip(SKIP_1) | instid1(VALU_DEP_2)
	s_mul_i32 s0, s23, s2
	v_mul_lo_u32 v2, v50, s23
	v_lshlrev_b64 v[0:1], 3, v[0:1]
	s_add_i32 s0, s0, s22
	s_delay_alu instid0(SALU_CYCLE_1) | instskip(NEXT) | instid1(VALU_DEP_1)
	s_sub_i32 s0, s21, s0
	v_add_co_u32 v0, vcc_lo, s26, v0
	s_delay_alu instid0(VALU_DEP_2)
	v_add_co_ci_u32_e32 v1, vcc_lo, s27, v1, vcc_lo
	s_clause 0x2
	global_load_b64 v[28:29], v[0:1], off offset:16
	global_load_b128 v[4:7], v[0:1], off
	global_load_b128 v[153:156], v[0:1], off offset:-16
	v_mul_lo_u32 v1, v22, s20
	v_add_nc_u32_e32 v0, s0, v20
	s_delay_alu instid0(VALU_DEP_1) | instskip(SKIP_1) | instid1(VALU_DEP_2)
	v_add_nc_u32_e32 v98, v1, v0
	v_add_nc_u32_e32 v0, v2, v0
	v_add_nc_u32_e32 v18, v98, v2
	s_delay_alu instid0(VALU_DEP_1) | instskip(NEXT) | instid1(VALU_DEP_1)
	v_ashrrev_i32_e32 v19, 31, v18
	v_lshlrev_b64 v[54:55], 3, v[18:19]
	s_delay_alu instid0(VALU_DEP_1) | instskip(NEXT) | instid1(VALU_DEP_2)
	v_add_co_u32 v18, vcc_lo, s16, v54
	v_add_co_ci_u32_e32 v19, vcc_lo, s17, v55, vcc_lo
	s_add_i32 s16, s1, 1
	s_mov_b32 s1, 0x3fc55555
	s_mul_i32 s16, s16, s23
	global_load_b64 v[18:19], v[18:19], off
	s_mul_i32 s17, s16, 3
	s_lshl_b32 s21, s16, 1
	s_waitcnt vmcnt(2)
	v_mul_f64 v[16:17], v[12:13], v[4:5]
	s_waitcnt vmcnt(0)
	s_delay_alu instid0(VALU_DEP_1) | instskip(NEXT) | instid1(VALU_DEP_1)
	v_div_scale_f64 v[23:24], null, v[18:19], v[18:19], v[16:17]
	v_rcp_f64_e32 v[25:26], v[23:24]
	s_waitcnt_depctr 0xfff
	v_fma_f64 v[30:31], -v[23:24], v[25:26], 1.0
	s_delay_alu instid0(VALU_DEP_1) | instskip(NEXT) | instid1(VALU_DEP_1)
	v_fma_f64 v[25:26], v[25:26], v[30:31], v[25:26]
	v_fma_f64 v[30:31], -v[23:24], v[25:26], 1.0
	s_delay_alu instid0(VALU_DEP_1) | instskip(SKIP_1) | instid1(VALU_DEP_1)
	v_fma_f64 v[25:26], v[25:26], v[30:31], v[25:26]
	v_div_scale_f64 v[30:31], vcc_lo, v[16:17], v[18:19], v[16:17]
	v_mul_f64 v[32:33], v[30:31], v[25:26]
	s_delay_alu instid0(VALU_DEP_1) | instskip(NEXT) | instid1(VALU_DEP_1)
	v_fma_f64 v[23:24], -v[23:24], v[32:33], v[30:31]
	v_div_fmas_f64 v[23:24], v[23:24], v[25:26], v[32:33]
	s_delay_alu instid0(VALU_DEP_1)
	v_div_fixup_f64 v[16:17], v[23:24], v[18:19], v[16:17]
	v_div_scale_f64 v[18:19], null, v[4:5], v[4:5], 1.0
	scratch_store_b64 off, v[16:17], off    ; 8-byte Folded Spill
	v_rcp_f64_e32 v[23:24], v[18:19]
	v_add3_u32 v16, v2, v1, s0
	s_sub_i32 s0, s0, s16
	s_delay_alu instid0(SALU_CYCLE_1) | instskip(NEXT) | instid1(VALU_DEP_1)
	v_add_nc_u32_e32 v17, s0, v1
	v_add_nc_u32_e32 v166, v17, v3
	s_delay_alu instid0(VALU_DEP_1) | instskip(SKIP_2) | instid1(VALU_DEP_1)
	v_add_nc_u32_e32 v164, v166, v2
	s_waitcnt_depctr 0xfff
	v_fma_f64 v[25:26], -v[18:19], v[23:24], 1.0
	v_fma_f64 v[23:24], v[23:24], v[25:26], v[23:24]
	s_delay_alu instid0(VALU_DEP_1) | instskip(NEXT) | instid1(VALU_DEP_1)
	v_fma_f64 v[25:26], -v[18:19], v[23:24], 1.0
	v_fma_f64 v[23:24], v[23:24], v[25:26], v[23:24]
	v_div_scale_f64 v[25:26], vcc_lo, 1.0, v[4:5], 1.0
	s_delay_alu instid0(VALU_DEP_1) | instskip(NEXT) | instid1(VALU_DEP_1)
	v_mul_f64 v[30:31], v[25:26], v[23:24]
	v_fma_f64 v[18:19], -v[18:19], v[30:31], v[25:26]
	s_delay_alu instid0(VALU_DEP_1) | instskip(NEXT) | instid1(VALU_DEP_1)
	v_div_fmas_f64 v[18:19], v[18:19], v[23:24], v[30:31]
	v_div_fixup_f64 v[56:57], v[18:19], v[4:5], 1.0
	v_div_scale_f64 v[18:19], null, v[12:13], v[12:13], 1.0
	s_delay_alu instid0(VALU_DEP_1) | instskip(SKIP_2) | instid1(VALU_DEP_1)
	v_rcp_f64_e32 v[23:24], v[18:19]
	s_waitcnt_depctr 0xfff
	v_fma_f64 v[25:26], -v[18:19], v[23:24], 1.0
	v_fma_f64 v[23:24], v[23:24], v[25:26], v[23:24]
	s_delay_alu instid0(VALU_DEP_1) | instskip(NEXT) | instid1(VALU_DEP_1)
	v_fma_f64 v[25:26], -v[18:19], v[23:24], 1.0
	v_fma_f64 v[23:24], v[23:24], v[25:26], v[23:24]
	v_div_scale_f64 v[25:26], vcc_lo, 1.0, v[12:13], 1.0
	s_delay_alu instid0(VALU_DEP_1) | instskip(NEXT) | instid1(VALU_DEP_1)
	v_mul_f64 v[30:31], v[25:26], v[23:24]
	v_fma_f64 v[18:19], -v[18:19], v[30:31], v[25:26]
	s_delay_alu instid0(VALU_DEP_1) | instskip(SKIP_2) | instid1(VALU_DEP_2)
	v_div_fmas_f64 v[18:19], v[18:19], v[23:24], v[30:31]
	v_add_nc_u32_e32 v23, v16, v3
	v_add_nc_u32_e32 v3, -1, v20
	v_ashrrev_i32_e32 v24, 31, v23
	s_delay_alu instid0(VALU_DEP_2)
	v_add_nc_u32_e32 v25, v16, v3
	v_add_nc_u32_e32 v167, v17, v3
	;; [unrolled: 1-line block ×3, first 2 shown]
	s_mov_b32 s0, 0x55555555
	v_lshlrev_b64 v[23:24], 3, v[23:24]
	v_ashrrev_i32_e32 v26, 31, v25
	v_add_nc_u32_e32 v163, v167, v2
	v_add_nc_u32_e32 v110, v1, v3
	;; [unrolled: 1-line block ×3, first 2 shown]
	s_mov_b32 s2, s0
	v_add_co_u32 v23, vcc_lo, s10, v23
	v_add_co_ci_u32_e32 v24, vcc_lo, s11, v24, vcc_lo
	v_lshlrev_b64 v[25:26], 3, v[25:26]
	v_add_nc_u32_e32 v99, v110, v2
	v_add_nc_u32_e32 v37, v16, v1
	global_load_b64 v[62:63], v[23:24], off
	v_add_nc_u32_e32 v23, s16, v164
	v_add_nc_u32_e32 v169, v17, v1
	;; [unrolled: 1-line block ×3, first 2 shown]
	v_ashrrev_i32_e32 v38, 31, v37
	s_delay_alu instid0(VALU_DEP_4) | instskip(NEXT) | instid1(VALU_DEP_4)
	v_ashrrev_i32_e32 v24, 31, v23
	v_add_nc_u32_e32 v165, v169, v2
	s_delay_alu instid0(VALU_DEP_4) | instskip(NEXT) | instid1(VALU_DEP_4)
	v_add_nc_u32_e32 v20, v16, v1
	v_lshlrev_b64 v[37:38], 3, v[37:38]
	v_add_nc_u32_e32 v170, v17, v1
	v_lshlrev_b64 v[23:24], 3, v[23:24]
	v_add_nc_u32_e32 v1, -2, v22
	v_ashrrev_i32_e32 v21, 31, v20
	v_div_fixup_f64 v[18:19], v[18:19], v[12:13], 1.0
	v_add_nc_u32_e32 v168, v170, v2
	v_add_co_u32 v23, vcc_lo, s14, v23
	v_add_co_ci_u32_e32 v24, vcc_lo, s15, v24, vcc_lo
	v_add_co_u32 v25, vcc_lo, s10, v25
	v_add_co_ci_u32_e32 v26, vcc_lo, s11, v26, vcc_lo
	global_load_b64 v[64:65], v[23:24], off
	v_lshlrev_b64 v[20:21], 3, v[20:21]
	v_add_nc_u32_e32 v42, s16, v168
	global_load_b64 v[58:59], v[25:26], off
	v_add_nc_u32_e32 v25, s16, v163
	v_mul_lo_u32 v1, v1, s20
	v_ashrrev_i32_e32 v43, 31, v42
	s_delay_alu instid0(VALU_DEP_3) | instskip(NEXT) | instid1(VALU_DEP_3)
	v_ashrrev_i32_e32 v26, 31, v25
	v_add_nc_u32_e32 v22, v0, v1
	s_delay_alu instid0(VALU_DEP_2) | instskip(SKIP_2) | instid1(VALU_DEP_3)
	v_lshlrev_b64 v[25:26], 3, v[25:26]
	v_add_nc_u32_e32 v157, v1, v3
	v_add_nc_u32_e32 v1, s20, v1
	v_add_co_u32 v25, vcc_lo, s14, v25
	s_delay_alu instid0(VALU_DEP_4)
	v_add_co_ci_u32_e32 v26, vcc_lo, s15, v26, vcc_lo
	v_add_co_u32 v32, vcc_lo, s10, v54
	v_add_co_ci_u32_e32 v33, vcc_lo, s11, v55, vcc_lo
	global_load_b64 v[60:61], v[25:26], off
	v_add_nc_u32_e32 v191, v157, v2
	v_mul_f64 v[76:77], v[18:19], v[56:57]
	global_load_b64 v[84:85], v[32:33], off
	v_add_nc_u32_e32 v32, s16, v99
	s_delay_alu instid0(VALU_DEP_1) | instskip(NEXT) | instid1(VALU_DEP_1)
	v_ashrrev_i32_e32 v33, 31, v32
	v_lshlrev_b64 v[48:49], 3, v[32:33]
	s_delay_alu instid0(VALU_DEP_1) | instskip(NEXT) | instid1(VALU_DEP_2)
	v_add_co_u32 v33, vcc_lo, s14, v48
	v_add_co_ci_u32_e32 v34, vcc_lo, s15, v49, vcc_lo
	v_add_co_u32 v37, vcc_lo, s10, v37
	v_add_co_ci_u32_e32 v38, vcc_lo, s11, v38, vcc_lo
	global_load_b64 v[33:34], v[33:34], off
	global_load_b64 v[66:67], v[37:38], off
	v_add_nc_u32_e32 v37, s16, v165
	s_delay_alu instid0(VALU_DEP_1) | instskip(NEXT) | instid1(VALU_DEP_1)
	v_ashrrev_i32_e32 v38, 31, v37
	v_lshlrev_b64 v[38:39], 3, v[37:38]
	s_delay_alu instid0(VALU_DEP_1) | instskip(NEXT) | instid1(VALU_DEP_2)
	v_add_co_u32 v38, vcc_lo, s14, v38
	v_add_co_ci_u32_e32 v39, vcc_lo, s15, v39, vcc_lo
	v_add_co_u32 v20, vcc_lo, s10, v20
	v_add_co_ci_u32_e32 v21, vcc_lo, s11, v21, vcc_lo
	global_load_b64 v[68:69], v[38:39], off
	global_load_b64 v[72:73], v[20:21], off
	v_lshlrev_b64 v[20:21], 3, v[42:43]
	s_delay_alu instid0(VALU_DEP_1) | instskip(NEXT) | instid1(VALU_DEP_2)
	v_add_co_u32 v20, vcc_lo, s14, v20
	v_add_co_ci_u32_e32 v21, vcc_lo, s15, v21, vcc_lo
	global_load_b64 v[74:75], v[20:21], off
	s_waitcnt vmcnt(8)
	v_mul_f64 v[23:24], v[62:63], v[64:65]
	s_waitcnt vmcnt(6)
	v_mul_f64 v[25:26], v[58:59], v[60:61]
	s_delay_alu instid0(VALU_DEP_2) | instskip(SKIP_2) | instid1(VALU_DEP_3)
	v_mul_f64 v[23:24], v[64:65], v[23:24]
	s_waitcnt vmcnt(4)
	v_mul_f64 v[35:36], v[84:85], v[33:34]
	v_mul_f64 v[25:26], v[60:61], v[25:26]
	s_waitcnt vmcnt(2)
	v_mul_f64 v[38:39], v[66:67], v[68:69]
	s_delay_alu instid0(VALU_DEP_3) | instskip(SKIP_2) | instid1(VALU_DEP_4)
	v_mul_f64 v[33:34], v[33:34], v[35:36]
	s_waitcnt vmcnt(0)
	v_mul_f64 v[20:21], v[72:73], v[74:75]
	v_mul_f64 v[30:31], v[10:11], v[25:26]
	s_delay_alu instid0(VALU_DEP_4) | instskip(NEXT) | instid1(VALU_DEP_4)
	v_mul_f64 v[38:39], v[68:69], v[38:39]
	v_mul_f64 v[35:36], v[12:13], v[33:34]
	;; [unrolled: 1-line block ×4, first 2 shown]
	s_delay_alu instid0(VALU_DEP_4) | instskip(NEXT) | instid1(VALU_DEP_4)
	v_mul_f64 v[40:41], v[14:15], v[38:39]
	v_fma_f64 v[43:44], v[8:9], v[23:24], v[35:36]
	v_fma_f64 v[25:26], v[10:11], v[25:26], v[35:36]
	s_delay_alu instid0(VALU_DEP_3) | instskip(NEXT) | instid1(VALU_DEP_3)
	v_fma_f64 v[23:24], v[8:9], v[23:24], v[40:41]
	v_fma_f64 v[43:44], 0xbfe80000, v[43:44], v[30:31]
	s_delay_alu instid0(VALU_DEP_2) | instskip(SKIP_3) | instid1(VALU_DEP_2)
	v_fma_f64 v[23:24], 0x40080000, v[25:26], v[23:24]
	v_fma_f64 v[25:26], v[52:53], v[20:21], v[30:31]
	v_fma_f64 v[30:31], v[14:15], v[38:39], v[35:36]
	v_fma_f64 v[20:21], v[52:53], v[20:21], v[35:36]
	v_fma_f64 v[25:26], 0x40080000, v[30:31], v[25:26]
	s_delay_alu instid0(VALU_DEP_2) | instskip(SKIP_1) | instid1(VALU_DEP_1)
	v_fma_f64 v[30:31], 0xbfe80000, v[20:21], v[40:41]
	v_add_nc_u32_e32 v20, s17, v164
	v_ashrrev_i32_e32 v21, 31, v20
	s_delay_alu instid0(VALU_DEP_1) | instskip(NEXT) | instid1(VALU_DEP_1)
	v_lshlrev_b64 v[20:21], 3, v[20:21]
	v_add_co_u32 v20, vcc_lo, s8, v20
	s_delay_alu instid0(VALU_DEP_2) | instskip(SKIP_2) | instid1(VALU_DEP_1)
	v_add_co_ci_u32_e32 v21, vcc_lo, s9, v21, vcc_lo
	global_load_b64 v[35:36], v[20:21], off
	v_add_nc_u32_e32 v20, s21, v32
	v_ashrrev_i32_e32 v21, 31, v20
	s_delay_alu instid0(VALU_DEP_1) | instskip(SKIP_1) | instid1(VALU_DEP_2)
	v_lshlrev_b64 v[16:17], 3, v[20:21]
	v_add_nc_u32_e32 v20, v1, v3
	v_add_co_u32 v38, vcc_lo, s8, v16
	s_delay_alu instid0(VALU_DEP_3) | instskip(NEXT) | instid1(VALU_DEP_3)
	v_add_co_ci_u32_e32 v39, vcc_lo, s9, v17, vcc_lo
	v_add_nc_u32_e32 v21, v20, v2
	global_load_b64 v[80:81], v[38:39], off
	v_add_nc_u32_e32 v38, s17, v163
	scratch_store_b32 off, v21, off offset:8 ; 4-byte Folded Spill
	v_ashrrev_i32_e32 v39, 31, v38
	s_delay_alu instid0(VALU_DEP_1) | instskip(NEXT) | instid1(VALU_DEP_1)
	v_lshlrev_b64 v[38:39], 3, v[38:39]
	v_add_co_u32 v38, vcc_lo, s8, v38
	s_delay_alu instid0(VALU_DEP_2)
	v_add_co_ci_u32_e32 v39, vcc_lo, s9, v39, vcc_lo
	global_load_b64 v[38:39], v[38:39], off
	s_waitcnt vmcnt(1)
	v_add_f64 v[35:36], v[35:36], -v[80:81]
	s_waitcnt vmcnt(0)
	v_add_f64 v[38:39], v[38:39], -v[80:81]
	s_delay_alu instid0(VALU_DEP_1) | instskip(SKIP_1) | instid1(VALU_DEP_1)
	v_mul_f64 v[23:24], v[23:24], v[38:39]
	v_add_nc_u32_e32 v38, s16, v21
	v_ashrrev_i32_e32 v39, 31, v38
	s_delay_alu instid0(VALU_DEP_3) | instskip(SKIP_1) | instid1(VALU_DEP_1)
	v_fma_f64 v[23:24], v[43:44], v[35:36], v[23:24]
	v_add_nc_u32_e32 v35, s21, v37
	v_ashrrev_i32_e32 v36, 31, v35
	s_delay_alu instid0(VALU_DEP_1) | instskip(NEXT) | instid1(VALU_DEP_1)
	v_lshlrev_b64 v[35:36], 3, v[35:36]
	v_add_co_u32 v35, vcc_lo, s8, v35
	s_delay_alu instid0(VALU_DEP_2) | instskip(SKIP_3) | instid1(VALU_DEP_1)
	v_add_co_ci_u32_e32 v36, vcc_lo, s9, v36, vcc_lo
	global_load_b64 v[35:36], v[35:36], off
	s_waitcnt vmcnt(0)
	v_add_f64 v[35:36], v[35:36], -v[80:81]
	v_fma_f64 v[23:24], v[25:26], v[35:36], v[23:24]
	v_add_nc_u32_e32 v25, s21, v42
	s_delay_alu instid0(VALU_DEP_1) | instskip(NEXT) | instid1(VALU_DEP_1)
	v_ashrrev_i32_e32 v26, 31, v25
	v_lshlrev_b64 v[25:26], 3, v[25:26]
	s_delay_alu instid0(VALU_DEP_1) | instskip(NEXT) | instid1(VALU_DEP_2)
	v_add_co_u32 v25, vcc_lo, s8, v25
	v_add_co_ci_u32_e32 v26, vcc_lo, s9, v26, vcc_lo
	global_load_b64 v[25:26], v[25:26], off
	s_waitcnt vmcnt(0)
	v_add_f64 v[25:26], v[25:26], -v[80:81]
	s_delay_alu instid0(VALU_DEP_1) | instskip(NEXT) | instid1(VALU_DEP_1)
	v_fma_f64 v[23:24], v[30:31], v[25:26], v[23:24]
	v_mul_f64 v[23:24], v[23:24], s[0:1]
	s_delay_alu instid0(VALU_DEP_1) | instskip(SKIP_1) | instid1(VALU_DEP_1)
	v_fma_f64 v[70:71], v[56:57], v[23:24], 0
	v_ashrrev_i32_e32 v23, 31, v22
	v_lshlrev_b64 v[22:23], 3, v[22:23]
	s_delay_alu instid0(VALU_DEP_1) | instskip(NEXT) | instid1(VALU_DEP_2)
	v_add_co_u32 v22, vcc_lo, s10, v22
	v_add_co_ci_u32_e32 v23, vcc_lo, s11, v23, vcc_lo
	global_load_b64 v[36:37], v[22:23], off
	v_add_nc_u32_e32 v22, s16, v191
	s_delay_alu instid0(VALU_DEP_1) | instskip(NEXT) | instid1(VALU_DEP_1)
	v_ashrrev_i32_e32 v23, 31, v22
	v_lshlrev_b64 v[22:23], 3, v[22:23]
	s_delay_alu instid0(VALU_DEP_1) | instskip(NEXT) | instid1(VALU_DEP_2)
	v_add_co_u32 v22, vcc_lo, s14, v22
	v_add_co_ci_u32_e32 v23, vcc_lo, s15, v23, vcc_lo
	global_load_b64 v[30:31], v[22:23], off
	s_waitcnt vmcnt(0)
	v_mul_f64 v[22:23], v[36:37], v[30:31]
	s_delay_alu instid0(VALU_DEP_1) | instskip(SKIP_2) | instid1(VALU_DEP_2)
	v_mul_f64 v[26:27], v[30:31], v[22:23]
	v_add_nc_u32_e32 v22, v0, v1
	v_lshl_add_u32 v1, s20, 1, v1
	v_ashrrev_i32_e32 v23, 31, v22
	s_delay_alu instid0(VALU_DEP_2)
	v_add_nc_u32_e32 v158, v1, v3
	v_add_nc_u32_e32 v32, v0, v1
	;; [unrolled: 1-line block ×3, first 2 shown]
	s_lshl_b32 s20, s16, 2
	v_lshlrev_b64 v[22:23], 3, v[22:23]
	v_add_nc_u32_e32 v21, v158, v2
	v_ashrrev_i32_e32 v33, 31, v32
	v_add_nc_u32_e32 v159, v1, v3
	s_delay_alu instid0(VALU_DEP_4)
	v_add_co_u32 v22, vcc_lo, s10, v22
	v_add_co_ci_u32_e32 v23, vcc_lo, s11, v23, vcc_lo
	v_add_nc_u32_e32 v82, s16, v21
	v_lshlrev_b64 v[32:33], 3, v[32:33]
	global_load_b64 v[24:25], v[22:23], off
	v_lshlrev_b64 v[22:23], 3, v[38:39]
	v_ashrrev_i32_e32 v83, 31, v82
	s_delay_alu instid0(VALU_DEP_2) | instskip(NEXT) | instid1(VALU_DEP_2)
	v_add_co_u32 v22, vcc_lo, s14, v22
	v_lshlrev_b64 v[34:35], 3, v[82:83]
	s_delay_alu instid0(VALU_DEP_4) | instskip(SKIP_2) | instid1(VALU_DEP_4)
	v_add_co_ci_u32_e32 v23, vcc_lo, s15, v23, vcc_lo
	v_add_co_u32 v32, vcc_lo, s10, v32
	v_add_co_ci_u32_e32 v33, vcc_lo, s11, v33, vcc_lo
	v_add_co_u32 v34, vcc_lo, s14, v34
	v_add_co_ci_u32_e32 v35, vcc_lo, s15, v35, vcc_lo
	global_load_b64 v[32:33], v[32:33], off
	global_load_b64 v[22:23], v[22:23], off
	v_fma_f64 v[93:94], v[153:154], v[26:27], v[78:79]
	global_load_b64 v[34:35], v[34:35], off
	s_waitcnt vmcnt(1)
	v_mul_f64 v[39:40], v[24:25], v[22:23]
	s_waitcnt vmcnt(0)
	v_mul_f64 v[41:42], v[32:33], v[34:35]
	s_delay_alu instid0(VALU_DEP_2) | instskip(NEXT) | instid1(VALU_DEP_2)
	v_mul_f64 v[39:40], v[22:23], v[39:40]
	v_mul_f64 v[86:87], v[34:35], v[41:42]
	v_add_nc_u32_e32 v41, v0, v1
	v_add_nc_u32_e32 v0, v159, v2
	s_delay_alu instid0(VALU_DEP_2) | instskip(NEXT) | instid1(VALU_DEP_2)
	v_ashrrev_i32_e32 v42, 31, v41
	v_add_nc_u32_e32 v90, s16, v0
	scratch_store_b32 off, v0, off offset:12 ; 4-byte Folded Spill
	v_add_nc_u32_e32 v0, -2, v50
	v_lshlrev_b64 v[41:42], 3, v[41:42]
	v_ashrrev_i32_e32 v91, 31, v90
	s_delay_alu instid0(VALU_DEP_3) | instskip(NEXT) | instid1(VALU_DEP_2)
	v_mul_lo_u32 v161, v0, s23
	v_lshlrev_b64 v[44:45], 3, v[90:91]
	s_delay_alu instid0(VALU_DEP_4) | instskip(SKIP_1) | instid1(VALU_DEP_4)
	v_add_co_u32 v41, vcc_lo, s10, v41
	v_add_co_ci_u32_e32 v42, vcc_lo, s11, v42, vcc_lo
	v_add_nc_u32_e32 v50, v161, v98
	s_delay_alu instid0(VALU_DEP_4)
	v_add_co_u32 v44, vcc_lo, s14, v44
	v_add_co_ci_u32_e32 v45, vcc_lo, s15, v45, vcc_lo
	global_load_b64 v[42:43], v[41:42], off
	v_ashrrev_i32_e32 v51, 31, v50
	v_add_nc_u32_e32 v122, v161, v110
	global_load_b64 v[44:45], v[44:45], off
	v_add_nc_u32_e32 v160, s23, v161
	v_lshlrev_b64 v[50:51], 3, v[50:51]
	v_mul_f64 v[46:47], v[155:156], v[39:40]
	v_fma_f64 v[39:40], v[155:156], v[39:40], v[78:79]
	v_mul_f64 v[88:89], v[6:7], v[86:87]
	v_add_nc_u32_e32 v123, v160, v110
	v_lshl_add_u32 v162, s23, 1, v160
	s_delay_alu instid0(VALU_DEP_2) | instskip(NEXT) | instid1(VALU_DEP_2)
	v_add_nc_u32_e32 v176, s16, v123
	v_add_nc_u32_e32 v126, v162, v110
	v_add_nc_u32_e32 v171, s23, v162
	s_delay_alu instid0(VALU_DEP_3) | instskip(NEXT) | instid1(VALU_DEP_3)
	v_ashrrev_i32_e32 v177, 31, v176
	v_add_nc_u32_e32 v106, s21, v126
	s_delay_alu instid0(VALU_DEP_3) | instskip(NEXT) | instid1(VALU_DEP_2)
	v_add_nc_u32_e32 v0, v171, v110
	v_ashrrev_i32_e32 v107, 31, v106
	s_delay_alu instid0(VALU_DEP_2) | instskip(NEXT) | instid1(VALU_DEP_2)
	v_add_nc_u32_e32 v118, s21, v0
	v_lshlrev_b64 v[146:147], 3, v[106:107]
	v_add_nc_u32_e32 v106, s21, v106
	s_delay_alu instid0(VALU_DEP_3) | instskip(NEXT) | instid1(VALU_DEP_2)
	v_ashrrev_i32_e32 v119, 31, v118
	v_ashrrev_i32_e32 v107, 31, v106
	s_delay_alu instid0(VALU_DEP_2) | instskip(SKIP_1) | instid1(VALU_DEP_3)
	v_lshlrev_b64 v[148:149], 3, v[118:119]
	v_add_nc_u32_e32 v118, s21, v118
	v_lshlrev_b64 v[106:107], 3, v[106:107]
	s_delay_alu instid0(VALU_DEP_2) | instskip(SKIP_2) | instid1(VALU_DEP_3)
	v_ashrrev_i32_e32 v119, 31, v118
	v_fma_f64 v[93:94], 0xbfe80000, v[93:94], v[46:47]
	v_fma_f64 v[26:27], v[153:154], v[26:27], v[88:89]
	v_lshlrev_b64 v[118:119], 3, v[118:119]
	s_delay_alu instid0(VALU_DEP_2) | instskip(SKIP_3) | instid1(VALU_DEP_1)
	v_fma_f64 v[95:96], 0x40080000, v[39:40], v[26:27]
	v_fma_f64 v[39:40], v[6:7], v[86:87], v[78:79]
	s_waitcnt vmcnt(0)
	v_mul_f64 v[91:92], v[42:43], v[44:45]
	v_mul_f64 v[91:92], v[44:45], v[91:92]
	s_delay_alu instid0(VALU_DEP_1) | instskip(NEXT) | instid1(VALU_DEP_1)
	v_fma_f64 v[26:27], v[28:29], v[91:92], v[46:47]
	v_fma_f64 v[46:47], 0x40080000, v[39:40], v[26:27]
	;; [unrolled: 1-line block ×3, first 2 shown]
	s_delay_alu instid0(VALU_DEP_1) | instskip(SKIP_1) | instid1(VALU_DEP_1)
	v_fma_f64 v[78:79], 0xbfe80000, v[26:27], v[88:89]
	v_add_nc_u32_e32 v26, s17, v191
	v_ashrrev_i32_e32 v27, 31, v26
	s_delay_alu instid0(VALU_DEP_1) | instskip(NEXT) | instid1(VALU_DEP_1)
	v_lshlrev_b64 v[40:41], 3, v[26:27]
	v_add_co_u32 v26, vcc_lo, s8, v40
	s_delay_alu instid0(VALU_DEP_2) | instskip(SKIP_4) | instid1(VALU_DEP_1)
	v_add_co_ci_u32_e32 v27, vcc_lo, s9, v41, vcc_lo
	global_load_b64 v[26:27], v[26:27], off
	s_waitcnt vmcnt(0)
	v_add_f64 v[86:87], v[26:27], -v[80:81]
	v_add_nc_u32_e32 v26, s21, v38
	v_ashrrev_i32_e32 v27, 31, v26
	s_delay_alu instid0(VALU_DEP_1) | instskip(NEXT) | instid1(VALU_DEP_1)
	v_lshlrev_b64 v[26:27], 3, v[26:27]
	v_add_co_u32 v38, vcc_lo, s8, v26
	s_delay_alu instid0(VALU_DEP_2) | instskip(SKIP_3) | instid1(VALU_DEP_1)
	v_add_co_ci_u32_e32 v39, vcc_lo, s9, v27, vcc_lo
	global_load_b64 v[38:39], v[38:39], off
	s_waitcnt vmcnt(0)
	v_add_f64 v[38:39], v[38:39], -v[80:81]
	v_mul_f64 v[38:39], v[95:96], v[38:39]
	v_add_nc_u32_e32 v96, s21, v123
	s_delay_alu instid0(VALU_DEP_1) | instskip(NEXT) | instid1(VALU_DEP_1)
	v_ashrrev_i32_e32 v97, 31, v96
	v_lshlrev_b64 v[138:139], 3, v[96:97]
	v_add_nc_u32_e32 v96, s21, v96
	s_delay_alu instid0(VALU_DEP_1) | instskip(NEXT) | instid1(VALU_DEP_1)
	v_ashrrev_i32_e32 v97, 31, v96
	v_lshlrev_b64 v[96:97], 3, v[96:97]
	v_fma_f64 v[86:87], v[93:94], v[86:87], v[38:39]
	v_add_nc_u32_e32 v38, s21, v82
	s_delay_alu instid0(VALU_DEP_1) | instskip(NEXT) | instid1(VALU_DEP_1)
	v_ashrrev_i32_e32 v39, 31, v38
	v_lshlrev_b64 v[38:39], 3, v[38:39]
	s_delay_alu instid0(VALU_DEP_1) | instskip(NEXT) | instid1(VALU_DEP_2)
	v_add_co_u32 v82, vcc_lo, s8, v38
	v_add_co_ci_u32_e32 v83, vcc_lo, s9, v39, vcc_lo
	global_load_b64 v[82:83], v[82:83], off
	s_waitcnt vmcnt(0)
	v_add_f64 v[82:83], v[82:83], -v[80:81]
	s_delay_alu instid0(VALU_DEP_1) | instskip(SKIP_1) | instid1(VALU_DEP_1)
	v_fma_f64 v[82:83], v[46:47], v[82:83], v[86:87]
	v_add_nc_u32_e32 v46, s21, v90
	v_ashrrev_i32_e32 v47, 31, v46
	s_delay_alu instid0(VALU_DEP_1) | instskip(NEXT) | instid1(VALU_DEP_1)
	v_lshlrev_b64 v[46:47], 3, v[46:47]
	v_add_co_u32 v86, vcc_lo, s8, v46
	s_delay_alu instid0(VALU_DEP_2) | instskip(SKIP_3) | instid1(VALU_DEP_1)
	v_add_co_ci_u32_e32 v87, vcc_lo, s9, v47, vcc_lo
	global_load_b64 v[86:87], v[86:87], off
	s_waitcnt vmcnt(0)
	v_add_f64 v[86:87], v[86:87], -v[80:81]
	v_fma_f64 v[78:79], v[78:79], v[86:87], v[82:83]
	s_delay_alu instid0(VALU_DEP_1) | instskip(NEXT) | instid1(VALU_DEP_1)
	v_mul_f64 v[78:79], v[78:79], s[0:1]
	v_fma_f64 v[70:71], v[18:19], v[78:79], v[70:71]
	v_add_co_u32 v78, vcc_lo, s10, v50
	v_add_co_ci_u32_e32 v79, vcc_lo, s11, v51, vcc_lo
	v_add_co_u32 v50, vcc_lo, s12, v50
	v_add_co_ci_u32_e32 v51, vcc_lo, s13, v51, vcc_lo
	global_load_b64 v[82:83], v[78:79], off
	global_load_b64 v[92:93], v[50:51], off
	v_add_nc_u32_e32 v50, s21, v122
	s_delay_alu instid0(VALU_DEP_1) | instskip(NEXT) | instid1(VALU_DEP_1)
	v_ashrrev_i32_e32 v51, 31, v50
	v_lshlrev_b64 v[134:135], 3, v[50:51]
	v_add_nc_u32_e32 v50, s21, v50
	s_delay_alu instid0(VALU_DEP_1) | instskip(NEXT) | instid1(VALU_DEP_3)
	v_ashrrev_i32_e32 v51, 31, v50
	v_add_co_u32 v86, vcc_lo, s14, v134
	s_delay_alu instid0(VALU_DEP_4) | instskip(NEXT) | instid1(VALU_DEP_3)
	v_add_co_ci_u32_e32 v87, vcc_lo, s15, v135, vcc_lo
	v_lshlrev_b64 v[50:51], 3, v[50:51]
	global_load_b64 v[86:87], v[86:87], off
	v_add_co_u32 v50, vcc_lo, s14, v50
	v_add_co_ci_u32_e32 v51, vcc_lo, s15, v51, vcc_lo
	global_load_b64 v[94:95], v[50:51], off
	v_add_nc_u32_e32 v50, v160, v98
	s_delay_alu instid0(VALU_DEP_1) | instskip(NEXT) | instid1(VALU_DEP_1)
	v_ashrrev_i32_e32 v51, 31, v50
	v_lshlrev_b64 v[88:89], 3, v[50:51]
	s_delay_alu instid0(VALU_DEP_1) | instskip(NEXT) | instid1(VALU_DEP_2)
	v_add_co_u32 v50, vcc_lo, s10, v88
	v_add_co_ci_u32_e32 v51, vcc_lo, s11, v89, vcc_lo
	v_add_co_u32 v88, vcc_lo, s12, v88
	v_add_co_ci_u32_e32 v89, vcc_lo, s13, v89, vcc_lo
	;; [unrolled: 2-line block ×5, first 2 shown]
	global_load_b64 v[50:51], v[50:51], off
	global_load_b64 v[88:89], v[88:89], off
	s_clause 0x1
	global_load_b64 v[90:91], v[90:91], off
	global_load_b64 v[96:97], v[96:97], off
	;; [unrolled: 1-line block ×3, first 2 shown]
	v_add_nc_u32_e32 v54, s21, v99
	s_delay_alu instid0(VALU_DEP_1) | instskip(NEXT) | instid1(VALU_DEP_1)
	v_ashrrev_i32_e32 v55, 31, v54
	v_lshlrev_b64 v[142:143], 3, v[54:55]
	v_add_nc_u32_e32 v54, s21, v54
	s_delay_alu instid0(VALU_DEP_2) | instskip(NEXT) | instid1(VALU_DEP_3)
	v_add_co_u32 v99, vcc_lo, s14, v142
	v_add_co_ci_u32_e32 v100, vcc_lo, s15, v143, vcc_lo
	s_delay_alu instid0(VALU_DEP_3) | instskip(SKIP_2) | instid1(VALU_DEP_1)
	v_ashrrev_i32_e32 v55, 31, v54
	global_load_b64 v[140:141], v[99:100], off
	v_lshlrev_b64 v[54:55], 3, v[54:55]
	v_add_co_u32 v54, vcc_lo, s14, v54
	s_delay_alu instid0(VALU_DEP_2) | instskip(SKIP_3) | instid1(VALU_DEP_2)
	v_add_co_ci_u32_e32 v55, vcc_lo, s15, v55, vcc_lo
	global_load_b64 v[132:133], v[54:55], off
	v_add_nc_u32_e32 v54, v162, v98
	v_add_nc_u32_e32 v98, v171, v98
	v_ashrrev_i32_e32 v55, 31, v54
	s_waitcnt vmcnt(5)
	v_add_f64 v[108:109], v[50:51], v[88:89]
	s_waitcnt vmcnt(2)
	v_add_f64 v[124:125], v[84:85], v[136:137]
	s_delay_alu instid0(VALU_DEP_2) | instskip(SKIP_1) | instid1(VALU_DEP_2)
	v_mul_f64 v[114:115], v[108:109], v[90:91]
	s_waitcnt vmcnt(1)
	v_mul_f64 v[99:100], v[124:125], v[140:141]
	s_delay_alu instid0(VALU_DEP_2) | instskip(SKIP_1) | instid1(VALU_DEP_2)
	v_mul_f64 v[116:117], v[114:115], v[96:97]
	s_waitcnt vmcnt(0)
	v_mul_f64 v[120:121], v[99:100], v[132:133]
	v_lshlrev_b64 v[99:100], 3, v[54:55]
	s_delay_alu instid0(VALU_DEP_1) | instskip(NEXT) | instid1(VALU_DEP_2)
	v_add_co_u32 v54, vcc_lo, s10, v99
	v_add_co_ci_u32_e32 v55, vcc_lo, s11, v100, vcc_lo
	v_add_co_u32 v99, vcc_lo, s12, v99
	v_add_co_ci_u32_e32 v100, vcc_lo, s13, v100, vcc_lo
	global_load_b64 v[54:55], v[54:55], off
	v_add_co_u32 v102, vcc_lo, s14, v146
	global_load_b64 v[100:101], v[99:100], off
	v_add_co_ci_u32_e32 v103, vcc_lo, s15, v147, vcc_lo
	v_ashrrev_i32_e32 v99, 31, v98
	v_add_co_u32 v106, vcc_lo, s14, v106
	global_load_b64 v[102:103], v[102:103], off
	v_add_co_ci_u32_e32 v107, vcc_lo, s15, v107, vcc_lo
	v_lshlrev_b64 v[111:112], 3, v[98:99]
	v_add_f64 v[78:79], v[82:83], v[92:93]
	global_load_b64 v[106:107], v[106:107], off
	v_add_co_u32 v98, vcc_lo, s10, v111
	v_add_co_ci_u32_e32 v99, vcc_lo, s11, v112, vcc_lo
	v_add_co_u32 v111, vcc_lo, s12, v111
	v_add_co_ci_u32_e32 v112, vcc_lo, s13, v112, vcc_lo
	global_load_b64 v[98:99], v[98:99], off
	v_add_co_u32 v110, vcc_lo, s14, v148
	global_load_b64 v[112:113], v[111:112], off
	v_add_co_ci_u32_e32 v111, vcc_lo, s15, v149, vcc_lo
	v_add_co_u32 v118, vcc_lo, s14, v118
	v_add_co_ci_u32_e32 v119, vcc_lo, s15, v119, vcc_lo
	global_load_b64 v[110:111], v[110:111], off
	v_fma_f64 v[114:115], v[114:115], v[96:97], v[120:121]
	global_load_b64 v[118:119], v[118:119], off
	v_mul_f64 v[104:105], v[78:79], v[86:87]
	s_delay_alu instid0(VALU_DEP_1) | instskip(NEXT) | instid1(VALU_DEP_1)
	v_fma_f64 v[174:175], v[104:105], v[94:95], v[120:121]
	v_fma_f64 v[174:175], 0xbfe80000, v[174:175], v[116:117]
	s_waitcnt vmcnt(6)
	v_add_f64 v[150:151], v[54:55], v[100:101]
	s_waitcnt vmcnt(2)
	v_add_f64 v[172:173], v[98:99], v[112:113]
	s_delay_alu instid0(VALU_DEP_2) | instskip(SKIP_1) | instid1(VALU_DEP_2)
	v_mul_f64 v[127:128], v[150:151], v[102:103]
	s_waitcnt vmcnt(1)
	v_mul_f64 v[144:145], v[172:173], v[110:111]
	s_delay_alu instid0(VALU_DEP_2) | instskip(NEXT) | instid1(VALU_DEP_1)
	v_mul_f64 v[129:130], v[127:128], v[106:107]
	v_fma_f64 v[104:105], v[104:105], v[94:95], v[129:130]
	s_delay_alu instid0(VALU_DEP_1) | instskip(SKIP_1) | instid1(VALU_DEP_4)
	v_fma_f64 v[104:105], 0x40080000, v[114:115], v[104:105]
	s_waitcnt vmcnt(0)
	v_fma_f64 v[114:115], v[144:145], v[118:119], v[116:117]
	v_fma_f64 v[116:117], v[127:128], v[106:107], v[120:121]
	s_delay_alu instid0(VALU_DEP_1) | instskip(SKIP_2) | instid1(VALU_DEP_1)
	v_fma_f64 v[127:128], 0x40080000, v[116:117], v[114:115]
	v_fma_f64 v[114:115], v[144:145], v[118:119], v[120:121]
	v_add_nc_u32_e32 v144, s16, v122
	v_ashrrev_i32_e32 v145, 31, v144
	s_delay_alu instid0(VALU_DEP_1) | instskip(NEXT) | instid1(VALU_DEP_4)
	v_lshlrev_b64 v[116:117], 3, v[144:145]
	v_fma_f64 v[129:130], 0xbfe80000, v[114:115], v[129:130]
	s_delay_alu instid0(VALU_DEP_2) | instskip(NEXT) | instid1(VALU_DEP_3)
	v_add_co_u32 v114, vcc_lo, s8, v116
	v_add_co_ci_u32_e32 v115, vcc_lo, s9, v117, vcc_lo
	v_add_co_u32 v48, vcc_lo, s8, v48
	v_add_co_ci_u32_e32 v49, vcc_lo, s9, v49, vcc_lo
	s_clause 0x1
	global_load_b64 v[114:115], v[114:115], off
	global_load_b64 v[48:49], v[48:49], off
	s_waitcnt vmcnt(0)
	v_add_f64 v[120:121], v[114:115], -v[48:49]
	v_lshlrev_b64 v[114:115], 3, v[176:177]
	v_add_nc_u32_e32 v177, s16, v0
	s_delay_alu instid0(VALU_DEP_2) | instskip(NEXT) | instid1(VALU_DEP_3)
	v_add_co_u32 v122, vcc_lo, s8, v114
	v_add_co_ci_u32_e32 v123, vcc_lo, s9, v115, vcc_lo
	s_delay_alu instid0(VALU_DEP_3) | instskip(SKIP_3) | instid1(VALU_DEP_1)
	v_ashrrev_i32_e32 v178, 31, v177
	global_load_b64 v[122:123], v[122:123], off
	s_waitcnt vmcnt(0)
	v_add_f64 v[122:123], v[122:123], -v[48:49]
	v_mul_f64 v[104:105], v[104:105], v[122:123]
	s_delay_alu instid0(VALU_DEP_1) | instskip(SKIP_1) | instid1(VALU_DEP_1)
	v_fma_f64 v[104:105], v[174:175], v[120:121], v[104:105]
	v_add_nc_u32_e32 v174, s16, v126
	v_ashrrev_i32_e32 v175, 31, v174
	s_delay_alu instid0(VALU_DEP_1) | instskip(NEXT) | instid1(VALU_DEP_1)
	v_lshlrev_b64 v[120:121], 3, v[174:175]
	v_add_co_u32 v122, vcc_lo, s8, v120
	s_delay_alu instid0(VALU_DEP_2) | instskip(SKIP_3) | instid1(VALU_DEP_1)
	v_add_co_ci_u32_e32 v123, vcc_lo, s9, v121, vcc_lo
	global_load_b64 v[122:123], v[122:123], off
	s_waitcnt vmcnt(0)
	v_add_f64 v[122:123], v[122:123], -v[48:49]
	v_fma_f64 v[104:105], v[127:128], v[122:123], v[104:105]
	v_lshlrev_b64 v[122:123], 3, v[177:178]
	s_delay_alu instid0(VALU_DEP_1) | instskip(NEXT) | instid1(VALU_DEP_2)
	v_add_co_u32 v126, vcc_lo, s8, v122
	v_add_co_ci_u32_e32 v127, vcc_lo, s9, v123, vcc_lo
	global_load_b64 v[126:127], v[126:127], off
	s_waitcnt vmcnt(0)
	v_add_f64 v[48:49], v[126:127], -v[48:49]
	s_delay_alu instid0(VALU_DEP_1) | instskip(NEXT) | instid1(VALU_DEP_1)
	v_fma_f64 v[48:49], v[129:130], v[48:49], v[104:105]
	v_mul_f64 v[48:49], v[48:49], s[0:1]
	s_delay_alu instid0(VALU_DEP_1) | instskip(SKIP_1) | instid1(VALU_DEP_1)
	v_fma_f64 v[48:49], v[56:57], v[48:49], v[70:71]
	v_add_nc_u32_e32 v70, s21, v144
	v_ashrrev_i32_e32 v71, 31, v70
	s_delay_alu instid0(VALU_DEP_1) | instskip(NEXT) | instid1(VALU_DEP_1)
	v_lshlrev_b64 v[130:131], 3, v[70:71]
	v_add_co_u32 v70, vcc_lo, s14, v130
	s_delay_alu instid0(VALU_DEP_2) | instskip(SKIP_2) | instid1(VALU_DEP_1)
	v_add_co_ci_u32_e32 v71, vcc_lo, s15, v131, vcc_lo
	global_load_b64 v[104:105], v[70:71], off
	v_add_nc_u32_e32 v70, s21, v176
	v_ashrrev_i32_e32 v71, 31, v70
	s_delay_alu instid0(VALU_DEP_1) | instskip(NEXT) | instid1(VALU_DEP_1)
	v_lshlrev_b64 v[128:129], 3, v[70:71]
	v_add_co_u32 v70, vcc_lo, s14, v128
	s_delay_alu instid0(VALU_DEP_2)
	v_add_co_ci_u32_e32 v71, vcc_lo, s15, v129, vcc_lo
	global_load_b64 v[70:71], v[70:71], off
	s_waitcnt vmcnt(1)
	v_mul_f64 v[178:179], v[78:79], v[104:105]
	v_add_co_u32 v78, vcc_lo, s14, v16
	v_add_co_ci_u32_e32 v79, vcc_lo, s15, v17, vcc_lo
	global_load_b64 v[144:145], v[78:79], off
	s_waitcnt vmcnt(1)
	v_mul_f64 v[175:176], v[108:109], v[70:71]
	v_add_nc_u32_e32 v108, s21, v177
	s_delay_alu instid0(VALU_DEP_1) | instskip(NEXT) | instid1(VALU_DEP_3)
	v_ashrrev_i32_e32 v109, 31, v108
	v_mul_f64 v[180:181], v[96:97], v[175:176]
	s_waitcnt vmcnt(0)
	v_mul_f64 v[78:79], v[124:125], v[144:145]
	s_delay_alu instid0(VALU_DEP_3) | instskip(NEXT) | instid1(VALU_DEP_2)
	v_lshlrev_b64 v[124:125], 3, v[108:109]
	v_mul_f64 v[182:183], v[132:133], v[78:79]
	v_add_nc_u32_e32 v78, s21, v174
	s_delay_alu instid0(VALU_DEP_1) | instskip(NEXT) | instid1(VALU_DEP_1)
	v_ashrrev_i32_e32 v79, 31, v78
	v_lshlrev_b64 v[126:127], 3, v[78:79]
	s_delay_alu instid0(VALU_DEP_1) | instskip(NEXT) | instid1(VALU_DEP_2)
	v_add_co_u32 v78, vcc_lo, s14, v126
	v_add_co_ci_u32_e32 v79, vcc_lo, s15, v127, vcc_lo
	v_add_co_u32 v108, vcc_lo, s14, v124
	v_add_co_ci_u32_e32 v109, vcc_lo, s15, v125, vcc_lo
	global_load_b64 v[78:79], v[78:79], off
	v_add_co_u32 v134, vcc_lo, s8, v134
	global_load_b64 v[108:109], v[108:109], off
	v_add_co_ci_u32_e32 v135, vcc_lo, s9, v135, vcc_lo
	v_add_co_u32 v142, vcc_lo, s8, v142
	v_add_co_ci_u32_e32 v143, vcc_lo, s9, v143, vcc_lo
	v_add_co_u32 v138, vcc_lo, s8, v138
	v_add_co_ci_u32_e32 v139, vcc_lo, s9, v139, vcc_lo
	s_clause 0x1
	global_load_b64 v[134:135], v[134:135], off
	global_load_b64 v[142:143], v[142:143], off
	v_fma_f64 v[186:187], v[94:95], v[178:179], v[182:183]
	global_load_b64 v[138:139], v[138:139], off
	v_fma_f64 v[174:175], v[96:97], v[175:176], v[182:183]
	v_fma_f64 v[186:187], 0xbfe80000, v[186:187], v[180:181]
	s_waitcnt vmcnt(4)
	v_mul_f64 v[150:151], v[150:151], v[78:79]
	s_waitcnt vmcnt(3)
	v_mul_f64 v[172:173], v[172:173], v[108:109]
	s_waitcnt vmcnt(1)
	v_add_f64 v[134:135], v[134:135], -v[142:143]
	s_waitcnt vmcnt(0)
	v_add_f64 v[138:139], v[138:139], -v[142:143]
	s_delay_alu instid0(VALU_DEP_4) | instskip(SKIP_1) | instid1(VALU_DEP_2)
	v_mul_f64 v[184:185], v[106:107], v[150:151]
	v_fma_f64 v[150:151], v[106:107], v[150:151], v[182:183]
	v_fma_f64 v[177:178], v[94:95], v[178:179], v[184:185]
	s_delay_alu instid0(VALU_DEP_1) | instskip(SKIP_3) | instid1(VALU_DEP_1)
	v_fma_f64 v[174:175], 0x40080000, v[174:175], v[177:178]
	v_fma_f64 v[176:177], v[118:119], v[172:173], v[180:181]
	;; [unrolled: 1-line block ×3, first 2 shown]
	v_add3_u32 v182, v162, v167, s16
	v_ashrrev_i32_e32 v183, 31, v182
	v_mul_f64 v[138:139], v[174:175], v[138:139]
	v_fma_f64 v[150:151], 0x40080000, v[150:151], v[176:177]
	v_fma_f64 v[172:173], 0xbfe80000, v[172:173], v[184:185]
	s_delay_alu instid0(VALU_DEP_4) | instskip(NEXT) | instid1(VALU_DEP_4)
	v_lshlrev_b64 v[183:184], 3, v[182:183]
	v_fma_f64 v[134:135], v[186:187], v[134:135], v[138:139]
	v_add_co_u32 v138, vcc_lo, s8, v146
	v_add_co_ci_u32_e32 v139, vcc_lo, s9, v147, vcc_lo
	v_mul_f64 v[146:147], v[4:5], v[70:71]
	global_load_b64 v[138:139], v[138:139], off
	v_mul_f64 v[146:147], v[70:71], v[146:147]
	s_delay_alu instid0(VALU_DEP_1) | instskip(SKIP_2) | instid1(VALU_DEP_1)
	v_mul_f64 v[146:147], v[4:5], v[146:147]
	s_waitcnt vmcnt(0)
	v_add_f64 v[138:139], v[138:139], -v[142:143]
	v_fma_f64 v[134:135], v[150:151], v[138:139], v[134:135]
	v_add_co_u32 v138, vcc_lo, s8, v148
	v_add_co_ci_u32_e32 v139, vcc_lo, s9, v149, vcc_lo
	v_add_co_u32 v130, vcc_lo, s8, v130
	v_add_co_ci_u32_e32 v131, vcc_lo, s9, v131, vcc_lo
	global_load_b64 v[138:139], v[138:139], off
	v_add_co_u32 v128, vcc_lo, s8, v128
	v_add_co_ci_u32_e32 v129, vcc_lo, s9, v129, vcc_lo
	global_load_b64 v[130:131], v[130:131], off
	v_add_co_u32 v126, vcc_lo, s8, v126
	global_load_b64 v[128:129], v[128:129], off
	v_add_co_ci_u32_e32 v127, vcc_lo, s9, v127, vcc_lo
	v_add_co_u32 v124, vcc_lo, s8, v124
	v_add_co_ci_u32_e32 v125, vcc_lo, s9, v125, vcc_lo
	global_load_b64 v[126:127], v[126:127], off
	v_add3_u32 v148, v161, v167, s16
	global_load_b64 v[124:125], v[124:125], off
	v_ashrrev_i32_e32 v149, 31, v148
	v_add_nc_u32_e32 v178, s21, v148
	s_delay_alu instid0(VALU_DEP_2) | instskip(NEXT) | instid1(VALU_DEP_2)
	v_lshlrev_b64 v[149:150], 3, v[148:149]
	v_ashrrev_i32_e32 v179, 31, v178
	s_delay_alu instid0(VALU_DEP_1)
	v_lshlrev_b64 v[178:179], 3, v[178:179]
	s_waitcnt vmcnt(4)
	v_add_f64 v[138:139], v[138:139], -v[142:143]
	v_mul_f64 v[142:143], v[4:5], v[104:105]
	s_waitcnt vmcnt(3)
	v_add_f64 v[130:131], v[130:131], -v[80:81]
	s_waitcnt vmcnt(2)
	v_add_f64 v[128:129], v[128:129], -v[80:81]
	;; [unrolled: 2-line block ×4, first 2 shown]
	v_add3_u32 v124, v171, v166, s16
	s_delay_alu instid0(VALU_DEP_1) | instskip(SKIP_3) | instid1(VALU_DEP_3)
	v_ashrrev_i32_e32 v125, 31, v124
	v_fma_f64 v[134:135], v[172:173], v[138:139], v[134:135]
	v_mul_f64 v[138:139], v[12:13], v[86:87]
	v_mul_f64 v[142:143], v[104:105], v[142:143]
	;; [unrolled: 1-line block ×3, first 2 shown]
	s_delay_alu instid0(VALU_DEP_3) | instskip(NEXT) | instid1(VALU_DEP_3)
	v_mul_f64 v[138:139], v[86:87], v[138:139]
	v_mul_f64 v[142:143], v[4:5], v[142:143]
	v_mul_f64 v[86:87], v[82:83], v[86:87]
	s_delay_alu instid0(VALU_DEP_4) | instskip(SKIP_1) | instid1(VALU_DEP_4)
	v_fma_f64 v[0:1], v[18:19], v[134:135], v[48:49]
	v_fma_f64 v[134:135], v[82:83], 2.0, v[92:93]
	v_fma_f64 v[138:139], v[12:13], v[138:139], v[142:143]
	v_mul_f64 v[142:143], v[12:13], v[90:91]
	v_mul_f64 v[92:93], v[92:93], v[94:95]
	s_clause 0x1
	scratch_store_b64 off, v[16:17], off offset:16
	scratch_store_b64 off, v[0:1], off offset:24
	v_mul_f64 v[134:135], v[134:135], v[94:95]
	v_mul_f64 v[138:139], v[82:83], v[138:139]
	;; [unrolled: 1-line block ×3, first 2 shown]
	s_delay_alu instid0(VALU_DEP_2) | instskip(SKIP_1) | instid1(VALU_DEP_3)
	v_fma_f64 v[138:139], v[94:95], v[134:135], v[138:139]
	v_fma_f64 v[134:135], v[50:51], 2.0, v[88:89]
	v_fma_f64 v[142:143], v[12:13], v[142:143], v[146:147]
	s_delay_alu instid0(VALU_DEP_2) | instskip(NEXT) | instid1(VALU_DEP_2)
	v_mul_f64 v[134:135], v[134:135], v[96:97]
	v_mul_f64 v[142:143], v[50:51], v[142:143]
	s_delay_alu instid0(VALU_DEP_1) | instskip(SKIP_2) | instid1(VALU_DEP_2)
	v_fma_f64 v[142:143], v[96:97], v[134:135], v[142:143]
	v_fma_f64 v[134:135], v[84:85], 2.0, v[136:137]
	v_mul_f64 v[136:137], v[12:13], v[140:141]
	v_mul_f64 v[134:135], v[134:135], v[132:133]
	s_delay_alu instid0(VALU_DEP_2) | instskip(SKIP_1) | instid1(VALU_DEP_1)
	v_mul_f64 v[136:137], v[140:141], v[136:137]
	v_mul_f64 v[140:141], v[4:5], v[144:145]
	;; [unrolled: 1-line block ×3, first 2 shown]
	s_delay_alu instid0(VALU_DEP_1) | instskip(NEXT) | instid1(VALU_DEP_1)
	v_mul_f64 v[140:141], v[4:5], v[140:141]
	v_fma_f64 v[136:137], v[12:13], v[136:137], v[140:141]
	s_delay_alu instid0(VALU_DEP_1) | instskip(SKIP_1) | instid1(VALU_DEP_2)
	v_mul_f64 v[84:85], v[84:85], v[136:137]
	v_mul_f64 v[136:137], v[4:5], v[78:79]
	v_fma_f64 v[84:85], v[132:133], v[134:135], v[84:85]
	v_mul_f64 v[134:135], v[12:13], v[102:103]
	s_delay_alu instid0(VALU_DEP_3) | instskip(SKIP_1) | instid1(VALU_DEP_3)
	v_mul_f64 v[136:137], v[78:79], v[136:137]
	v_fma_f64 v[132:133], v[54:55], 2.0, v[100:101]
	v_mul_f64 v[134:135], v[102:103], v[134:135]
	s_delay_alu instid0(VALU_DEP_3) | instskip(NEXT) | instid1(VALU_DEP_3)
	v_mul_f64 v[136:137], v[4:5], v[136:137]
	v_mul_f64 v[132:133], v[132:133], v[106:107]
	;; [unrolled: 1-line block ×3, first 2 shown]
	s_delay_alu instid0(VALU_DEP_3) | instskip(SKIP_1) | instid1(VALU_DEP_2)
	v_fma_f64 v[134:135], v[12:13], v[134:135], v[136:137]
	v_mul_f64 v[136:137], v[4:5], v[108:109]
	v_mul_f64 v[134:135], v[54:55], v[134:135]
	s_delay_alu instid0(VALU_DEP_2) | instskip(NEXT) | instid1(VALU_DEP_2)
	v_mul_f64 v[136:137], v[108:109], v[136:137]
	v_fma_f64 v[140:141], v[106:107], v[132:133], v[134:135]
	v_mul_f64 v[134:135], v[12:13], v[110:111]
	s_delay_alu instid0(VALU_DEP_3) | instskip(SKIP_1) | instid1(VALU_DEP_3)
	v_mul_f64 v[136:137], v[4:5], v[136:137]
	v_fma_f64 v[132:133], v[98:99], 2.0, v[112:113]
	v_mul_f64 v[134:135], v[110:111], v[134:135]
	v_mul_f64 v[110:111], v[98:99], v[110:111]
	s_delay_alu instid0(VALU_DEP_3) | instskip(NEXT) | instid1(VALU_DEP_3)
	v_mul_f64 v[132:133], v[132:133], v[118:119]
	v_fma_f64 v[134:135], v[12:13], v[134:135], v[136:137]
	v_add_f64 v[136:137], v[142:143], v[84:85]
	s_delay_alu instid0(VALU_DEP_2) | instskip(NEXT) | instid1(VALU_DEP_1)
	v_mul_f64 v[134:135], v[98:99], v[134:135]
	v_fma_f64 v[144:145], v[118:119], v[132:133], v[134:135]
	v_add_f64 v[132:133], v[138:139], v[84:85]
	s_delay_alu instid0(VALU_DEP_1) | instskip(SKIP_3) | instid1(VALU_DEP_3)
	v_fma_f64 v[134:135], 0xbfe80000, v[132:133], v[142:143]
	v_add_f64 v[132:133], v[138:139], v[140:141]
	v_add_f64 v[138:139], v[84:85], v[140:141]
	;; [unrolled: 1-line block ×3, first 2 shown]
	v_fma_f64 v[136:137], 0x40080000, v[136:137], v[132:133]
	v_add_f64 v[132:133], v[142:143], v[144:145]
	s_delay_alu instid0(VALU_DEP_3) | instskip(SKIP_1) | instid1(VALU_DEP_1)
	v_fma_f64 v[84:85], 0xbfe80000, v[84:85], v[140:141]
	v_add3_u32 v145, v161, v169, s16
	v_ashrrev_i32_e32 v146, 31, v145
	v_add_nc_u32_e32 v176, s21, v145
	s_delay_alu instid0(VALU_DEP_2) | instskip(NEXT) | instid1(VALU_DEP_2)
	v_lshlrev_b64 v[146:147], 3, v[145:146]
	v_ashrrev_i32_e32 v177, 31, v176
	s_delay_alu instid0(VALU_DEP_1) | instskip(SKIP_2) | instid1(VALU_DEP_2)
	v_lshlrev_b64 v[176:177], 3, v[176:177]
	v_mul_f64 v[128:129], v[136:137], v[128:129]
	v_fma_f64 v[132:133], 0x40080000, v[138:139], v[132:133]
	v_fma_f64 v[128:129], v[134:135], v[130:131], v[128:129]
	s_delay_alu instid0(VALU_DEP_1) | instskip(SKIP_2) | instid1(VALU_DEP_2)
	v_fma_f64 v[126:127], v[132:133], v[126:127], v[128:129]
	v_add3_u32 v129, v171, v169, s16
	v_add3_u32 v132, v171, v167, s16
	v_ashrrev_i32_e32 v130, 31, v129
	s_delay_alu instid0(VALU_DEP_2) | instskip(SKIP_2) | instid1(VALU_DEP_4)
	v_ashrrev_i32_e32 v133, 31, v132
	v_add_nc_u32_e32 v139, s21, v129
	v_add_nc_u32_e32 v141, s21, v132
	v_lshlrev_b64 v[130:131], 3, v[129:130]
	s_delay_alu instid0(VALU_DEP_4) | instskip(NEXT) | instid1(VALU_DEP_4)
	v_lshlrev_b64 v[133:134], 3, v[132:133]
	v_ashrrev_i32_e32 v140, 31, v139
	s_delay_alu instid0(VALU_DEP_4) | instskip(NEXT) | instid1(VALU_DEP_2)
	v_ashrrev_i32_e32 v142, 31, v141
	v_lshlrev_b64 v[139:140], 3, v[139:140]
	s_delay_alu instid0(VALU_DEP_2)
	v_lshlrev_b64 v[141:142], 3, v[141:142]
	v_fma_f64 v[80:81], v[84:85], v[80:81], v[126:127]
	v_mul_f64 v[84:85], v[112:113], v[118:119]
	v_add_co_u32 v112, vcc_lo, s14, v122
	v_add_co_ci_u32_e32 v113, vcc_lo, s15, v123, vcc_lo
	v_lshlrev_b64 v[125:126], 3, v[124:125]
	global_load_b64 v[118:119], v[112:113], off
	v_mul_f64 v[80:81], v[80:81], s[0:1]
	s_mov_b32 s1, 0xbfb55555
	s_waitcnt vmcnt(0)
	v_mul_f64 v[112:113], v[84:85], v[118:119]
	v_add3_u32 v84, v171, v170, s16
	v_mul_f64 v[110:111], v[110:111], v[118:119]
	s_delay_alu instid0(VALU_DEP_2) | instskip(NEXT) | instid1(VALU_DEP_1)
	v_ashrrev_i32_e32 v85, 31, v84
	v_lshlrev_b64 v[122:123], 3, v[84:85]
	v_add_nc_u32_e32 v84, s21, v84
	s_delay_alu instid0(VALU_DEP_2) | instskip(NEXT) | instid1(VALU_DEP_3)
	v_add_co_u32 v122, vcc_lo, s8, v122
	v_add_co_ci_u32_e32 v123, vcc_lo, s9, v123, vcc_lo
	v_add_co_u32 v125, vcc_lo, s8, v125
	v_add_co_ci_u32_e32 v126, vcc_lo, s9, v126, vcc_lo
	global_load_b64 v[122:123], v[122:123], off
	v_add_co_u32 v130, vcc_lo, s8, v130
	global_load_b64 v[125:126], v[125:126], off
	v_add_co_ci_u32_e32 v131, vcc_lo, s9, v131, vcc_lo
	v_add_co_u32 v133, vcc_lo, s8, v133
	v_add_co_ci_u32_e32 v134, vcc_lo, s9, v134, vcc_lo
	global_load_b64 v[130:131], v[130:131], off
	v_ashrrev_i32_e32 v85, 31, v84
	global_load_b64 v[133:134], v[133:134], off
	v_lshlrev_b64 v[84:85], 3, v[84:85]
	s_delay_alu instid0(VALU_DEP_1) | instskip(NEXT) | instid1(VALU_DEP_2)
	v_add_co_u32 v84, vcc_lo, s8, v84
	v_add_co_ci_u32_e32 v85, vcc_lo, s9, v85, vcc_lo
	s_waitcnt vmcnt(2)
	v_add_f64 v[127:128], v[122:123], -v[125:126]
	s_waitcnt vmcnt(0)
	v_add_f64 v[135:136], v[130:131], -v[133:134]
	s_delay_alu instid0(VALU_DEP_2) | instskip(NEXT) | instid1(VALU_DEP_1)
	v_mul_f64 v[127:128], v[127:128], s[0:1]
	v_fma_f64 v[127:128], v[135:136], s[2:3], v[127:128]
	global_load_b64 v[135:136], v[84:85], off
	v_add_nc_u32_e32 v84, s21, v124
	s_delay_alu instid0(VALU_DEP_1) | instskip(NEXT) | instid1(VALU_DEP_1)
	v_ashrrev_i32_e32 v85, 31, v84
	v_lshlrev_b64 v[84:85], 3, v[84:85]
	s_delay_alu instid0(VALU_DEP_1) | instskip(NEXT) | instid1(VALU_DEP_2)
	v_add_co_u32 v84, vcc_lo, s8, v84
	v_add_co_ci_u32_e32 v85, vcc_lo, s9, v85, vcc_lo
	v_add_co_u32 v139, vcc_lo, s8, v139
	v_add_co_ci_u32_e32 v140, vcc_lo, s9, v140, vcc_lo
	global_load_b64 v[137:138], v[84:85], off
	v_add_co_u32 v141, vcc_lo, s8, v141
	v_add_co_ci_u32_e32 v142, vcc_lo, s9, v142, vcc_lo
	global_load_b64 v[139:140], v[139:140], off
	v_add_co_u32 v94, vcc_lo, s14, v116
	global_load_b64 v[141:142], v[141:142], off
	v_add_co_ci_u32_e32 v95, vcc_lo, s15, v117, vcc_lo
	v_mul_f64 v[127:128], v[112:113], v[127:128]
	global_load_b64 v[94:95], v[94:95], off
	s_waitcnt vmcnt(3)
	v_add_f64 v[84:85], v[135:136], -v[137:138]
	s_waitcnt vmcnt(1)
	v_add_f64 v[143:144], v[139:140], -v[141:142]
	s_waitcnt vmcnt(0)
	v_mul_f64 v[86:87], v[86:87], v[94:95]
	v_mul_f64 v[92:93], v[92:93], v[94:95]
	s_delay_alu instid0(VALU_DEP_4) | instskip(NEXT) | instid1(VALU_DEP_1)
	v_mul_f64 v[84:85], v[84:85], s[0:1]
	v_fma_f64 v[84:85], v[143:144], s[2:3], v[84:85]
	s_delay_alu instid0(VALU_DEP_1) | instskip(SKIP_1) | instid1(VALU_DEP_1)
	v_mul_f64 v[84:85], v[110:111], v[84:85]
	v_add3_u32 v110, v161, v170, s16
	v_ashrrev_i32_e32 v111, 31, v110
	s_delay_alu instid0(VALU_DEP_1) | instskip(SKIP_1) | instid1(VALU_DEP_2)
	v_lshlrev_b64 v[116:117], 3, v[110:111]
	v_add_nc_u32_e32 v110, s21, v110
	v_add_co_u32 v116, vcc_lo, s8, v116
	s_delay_alu instid0(VALU_DEP_3) | instskip(NEXT) | instid1(VALU_DEP_3)
	v_add_co_ci_u32_e32 v117, vcc_lo, s9, v117, vcc_lo
	v_ashrrev_i32_e32 v111, 31, v110
	global_load_b64 v[116:117], v[116:117], off
	v_lshlrev_b64 v[110:111], 3, v[110:111]
	v_mul_f64 v[84:85], v[12:13], v[84:85]
	s_delay_alu instid0(VALU_DEP_1) | instskip(NEXT) | instid1(VALU_DEP_1)
	v_mul_f64 v[84:85], v[56:57], v[84:85]
	v_fma_f64 v[84:85], v[56:57], v[127:128], v[84:85]
	v_add3_u32 v127, v161, v166, s16
	s_delay_alu instid0(VALU_DEP_1) | instskip(NEXT) | instid1(VALU_DEP_1)
	v_ashrrev_i32_e32 v128, 31, v127
	v_lshlrev_b64 v[128:129], 3, v[127:128]
	s_delay_alu instid0(VALU_DEP_1) | instskip(NEXT) | instid1(VALU_DEP_2)
	v_add_co_u32 v128, vcc_lo, s8, v128
	v_add_co_ci_u32_e32 v129, vcc_lo, s9, v129, vcc_lo
	v_add_co_u32 v146, vcc_lo, s8, v146
	v_add_co_ci_u32_e32 v147, vcc_lo, s9, v147, vcc_lo
	global_load_b64 v[128:129], v[128:129], off
	v_add_co_u32 v149, vcc_lo, s8, v149
	global_load_b64 v[146:147], v[146:147], off
	v_add_co_ci_u32_e32 v150, vcc_lo, s9, v150, vcc_lo
	v_add_co_u32 v110, vcc_lo, s8, v110
	v_add_co_ci_u32_e32 v111, vcc_lo, s9, v111, vcc_lo
	s_clause 0x1
	global_load_b64 v[149:150], v[149:150], off
	global_load_b64 v[110:111], v[110:111], off
	s_waitcnt vmcnt(3)
	v_add_f64 v[143:144], v[116:117], -v[128:129]
	s_waitcnt vmcnt(1)
	v_add_f64 v[172:173], v[146:147], -v[149:150]
	s_delay_alu instid0(VALU_DEP_2) | instskip(NEXT) | instid1(VALU_DEP_1)
	v_mul_f64 v[143:144], v[143:144], s[0:1]
	v_fma_f64 v[143:144], v[172:173], s[2:3], v[143:144]
	v_add_nc_u32_e32 v172, s21, v127
	s_delay_alu instid0(VALU_DEP_1) | instskip(NEXT) | instid1(VALU_DEP_1)
	v_ashrrev_i32_e32 v173, 31, v172
	v_lshlrev_b64 v[172:173], 3, v[172:173]
	s_delay_alu instid0(VALU_DEP_1) | instskip(NEXT) | instid1(VALU_DEP_2)
	v_add_co_u32 v172, vcc_lo, s8, v172
	v_add_co_ci_u32_e32 v173, vcc_lo, s9, v173, vcc_lo
	v_add_co_u32 v176, vcc_lo, s8, v176
	v_add_co_ci_u32_e32 v177, vcc_lo, s9, v177, vcc_lo
	global_load_b64 v[172:173], v[172:173], off
	v_add_co_u32 v178, vcc_lo, s8, v178
	global_load_b64 v[176:177], v[176:177], off
	v_add_co_ci_u32_e32 v179, vcc_lo, s9, v179, vcc_lo
	global_load_b64 v[178:179], v[178:179], off
	v_mul_f64 v[143:144], v[92:93], v[143:144]
	s_waitcnt vmcnt(2)
	v_add_f64 v[174:175], v[110:111], -v[172:173]
	s_waitcnt vmcnt(0)
	v_add_f64 v[180:181], v[176:177], -v[178:179]
	s_delay_alu instid0(VALU_DEP_2) | instskip(NEXT) | instid1(VALU_DEP_1)
	v_mul_f64 v[174:175], v[174:175], s[0:1]
	v_fma_f64 v[174:175], v[180:181], s[2:3], v[174:175]
	s_delay_alu instid0(VALU_DEP_1) | instskip(SKIP_2) | instid1(VALU_DEP_2)
	v_mul_f64 v[86:87], v[86:87], v[174:175]
	v_add3_u32 v174, v162, v169, s16
	v_add3_u32 v169, v160, v169, s16
	v_ashrrev_i32_e32 v175, 31, v174
	s_delay_alu instid0(VALU_DEP_1) | instskip(SKIP_1) | instid1(VALU_DEP_1)
	v_lshlrev_b64 v[180:181], 3, v[174:175]
	v_mul_f64 v[86:87], v[12:13], v[86:87]
	v_mul_f64 v[86:87], v[56:57], v[86:87]
	s_delay_alu instid0(VALU_DEP_1) | instskip(NEXT) | instid1(VALU_DEP_1)
	v_fma_f64 v[86:87], v[56:57], v[143:144], v[86:87]
	v_add_f64 v[84:85], v[84:85], -v[86:87]
	s_delay_alu instid0(VALU_DEP_1) | instskip(NEXT) | instid1(VALU_DEP_1)
	v_mul_f64 v[84:85], v[84:85], s[0:1]
	v_fma_f64 v[143:144], v[76:77], v[80:81], v[84:85]
	v_add_co_u32 v80, vcc_lo, s14, v120
	v_add_co_ci_u32_e32 v81, vcc_lo, s15, v121, vcc_lo
	v_mul_f64 v[76:77], v[100:101], v[106:107]
	global_load_b64 v[86:87], v[80:81], off
	s_waitcnt vmcnt(0)
	v_mul_f64 v[80:81], v[76:77], v[86:87]
	v_add3_u32 v76, v162, v170, s16
	v_mul_f64 v[102:103], v[102:103], v[86:87]
	s_delay_alu instid0(VALU_DEP_2) | instskip(NEXT) | instid1(VALU_DEP_1)
	v_ashrrev_i32_e32 v77, 31, v76
	v_lshlrev_b64 v[84:85], 3, v[76:77]
	v_add_nc_u32_e32 v76, s21, v76
	s_delay_alu instid0(VALU_DEP_2) | instskip(NEXT) | instid1(VALU_DEP_3)
	v_add_co_u32 v84, vcc_lo, s8, v84
	v_add_co_ci_u32_e32 v85, vcc_lo, s9, v85, vcc_lo
	s_delay_alu instid0(VALU_DEP_3) | instskip(SKIP_3) | instid1(VALU_DEP_2)
	v_ashrrev_i32_e32 v77, 31, v76
	global_load_b64 v[100:101], v[84:85], off
	v_add3_u32 v84, v162, v166, s16
	v_lshlrev_b64 v[76:77], 3, v[76:77]
	v_ashrrev_i32_e32 v85, 31, v84
	s_delay_alu instid0(VALU_DEP_1) | instskip(NEXT) | instid1(VALU_DEP_1)
	v_lshlrev_b64 v[106:107], 3, v[84:85]
	v_add_co_u32 v106, vcc_lo, s8, v106
	s_delay_alu instid0(VALU_DEP_2)
	v_add_co_ci_u32_e32 v107, vcc_lo, s9, v107, vcc_lo
	v_add_co_u32 v180, vcc_lo, s8, v180
	v_add_co_ci_u32_e32 v181, vcc_lo, s9, v181, vcc_lo
	global_load_b64 v[106:107], v[106:107], off
	v_add_co_u32 v183, vcc_lo, s8, v183
	global_load_b64 v[180:181], v[180:181], off
	v_add_co_ci_u32_e32 v184, vcc_lo, s9, v184, vcc_lo
	v_add_co_u32 v76, vcc_lo, s8, v76
	v_add_co_ci_u32_e32 v77, vcc_lo, s9, v77, vcc_lo
	global_load_b64 v[183:184], v[183:184], off
	s_waitcnt vmcnt(2)
	v_add_f64 v[120:121], v[100:101], -v[106:107]
	s_waitcnt vmcnt(0)
	v_add_f64 v[185:186], v[180:181], -v[183:184]
	s_delay_alu instid0(VALU_DEP_2) | instskip(NEXT) | instid1(VALU_DEP_1)
	v_mul_f64 v[120:121], v[120:121], s[0:1]
	v_fma_f64 v[120:121], v[185:186], s[2:3], v[120:121]
	global_load_b64 v[185:186], v[76:77], off
	v_add_nc_u32_e32 v76, s21, v84
	v_add_nc_u32_e32 v84, s21, v174
	s_delay_alu instid0(VALU_DEP_2) | instskip(NEXT) | instid1(VALU_DEP_2)
	v_ashrrev_i32_e32 v77, 31, v76
	v_ashrrev_i32_e32 v85, 31, v84
	s_delay_alu instid0(VALU_DEP_2) | instskip(NEXT) | instid1(VALU_DEP_2)
	v_lshlrev_b64 v[76:77], 3, v[76:77]
	v_lshlrev_b64 v[84:85], 3, v[84:85]
	s_delay_alu instid0(VALU_DEP_2) | instskip(NEXT) | instid1(VALU_DEP_3)
	v_add_co_u32 v76, vcc_lo, s8, v76
	v_add_co_ci_u32_e32 v77, vcc_lo, s9, v77, vcc_lo
	s_delay_alu instid0(VALU_DEP_3) | instskip(NEXT) | instid1(VALU_DEP_4)
	v_add_co_u32 v84, vcc_lo, s8, v84
	v_add_co_ci_u32_e32 v85, vcc_lo, s9, v85, vcc_lo
	s_clause 0x1
	global_load_b64 v[187:188], v[76:77], off
	global_load_b64 v[174:175], v[84:85], off
	v_add_nc_u32_e32 v84, s21, v182
	s_delay_alu instid0(VALU_DEP_1) | instskip(SKIP_1) | instid1(VALU_DEP_2)
	v_ashrrev_i32_e32 v85, 31, v84
	v_mul_f64 v[120:121], v[80:81], v[120:121]
	v_lshlrev_b64 v[84:85], 3, v[84:85]
	s_delay_alu instid0(VALU_DEP_1) | instskip(NEXT) | instid1(VALU_DEP_2)
	v_add_co_u32 v84, vcc_lo, s8, v84
	v_add_co_ci_u32_e32 v85, vcc_lo, s9, v85, vcc_lo
	global_load_b64 v[189:190], v[84:85], off
	s_waitcnt vmcnt(2)
	v_add_f64 v[76:77], v[185:186], -v[187:188]
	s_waitcnt vmcnt(0)
	v_add_f64 v[84:85], v[174:175], -v[189:190]
	s_delay_alu instid0(VALU_DEP_2) | instskip(NEXT) | instid1(VALU_DEP_1)
	v_mul_f64 v[76:77], v[76:77], s[0:1]
	v_fma_f64 v[76:77], v[84:85], s[2:3], v[76:77]
	v_add_co_u32 v84, vcc_lo, s14, v114
	v_add3_u32 v114, v160, v166, s16
	v_add_co_ci_u32_e32 v85, vcc_lo, s15, v115, vcc_lo
	v_add3_u32 v166, v160, v167, s16
	s_delay_alu instid0(VALU_DEP_3) | instskip(SKIP_2) | instid1(VALU_DEP_1)
	v_ashrrev_i32_e32 v115, 31, v114
	global_load_b64 v[84:85], v[84:85], off
	v_ashrrev_i32_e32 v167, 31, v166
	v_lshlrev_b64 v[0:1], 3, v[166:167]
	v_add_nc_u32_e32 v166, s21, v166
	s_delay_alu instid0(VALU_DEP_1) | instskip(NEXT) | instid1(VALU_DEP_1)
	v_ashrrev_i32_e32 v167, 31, v166
	v_lshlrev_b64 v[166:167], 3, v[166:167]
	v_mul_f64 v[76:77], v[102:103], v[76:77]
	s_delay_alu instid0(VALU_DEP_1) | instskip(NEXT) | instid1(VALU_DEP_1)
	v_mul_f64 v[76:77], v[12:13], v[76:77]
	v_mul_f64 v[76:77], v[56:57], v[76:77]
	s_delay_alu instid0(VALU_DEP_1) | instskip(SKIP_4) | instid1(VALU_DEP_3)
	v_fma_f64 v[102:103], v[56:57], v[120:121], v[76:77]
	v_mul_f64 v[76:77], v[88:89], v[96:97]
	v_add3_u32 v88, v160, v170, s16
	v_lshlrev_b64 v[120:121], 3, v[114:115]
	v_ashrrev_i32_e32 v170, 31, v169
	v_ashrrev_i32_e32 v89, 31, v88
	s_delay_alu instid0(VALU_DEP_2) | instskip(SKIP_1) | instid1(VALU_DEP_3)
	v_lshlrev_b64 v[151:152], 3, v[169:170]
	v_add_nc_u32_e32 v169, s21, v169
	v_lshlrev_b64 v[96:97], 3, v[88:89]
	v_add_nc_u32_e32 v88, s21, v88
	s_delay_alu instid0(VALU_DEP_3) | instskip(NEXT) | instid1(VALU_DEP_3)
	v_ashrrev_i32_e32 v170, 31, v169
	v_add_co_u32 v96, vcc_lo, s8, v96
	s_delay_alu instid0(VALU_DEP_4)
	v_add_co_ci_u32_e32 v97, vcc_lo, s9, v97, vcc_lo
	v_add_co_u32 v120, vcc_lo, s8, v120
	v_add_co_ci_u32_e32 v121, vcc_lo, s9, v121, vcc_lo
	global_load_b64 v[96:97], v[96:97], off
	v_add_co_u32 v151, vcc_lo, s8, v151
	global_load_b64 v[120:121], v[120:121], off
	v_add_co_ci_u32_e32 v152, vcc_lo, s9, v152, vcc_lo
	v_add_co_u32 v0, vcc_lo, s8, v0
	v_add_co_ci_u32_e32 v1, vcc_lo, s9, v1, vcc_lo
	global_load_b64 v[151:152], v[151:152], off
	v_ashrrev_i32_e32 v89, 31, v88
	v_lshlrev_b64 v[169:170], 3, v[169:170]
	global_load_b64 v[0:1], v[0:1], off
	v_lshlrev_b64 v[88:89], 3, v[88:89]
	s_delay_alu instid0(VALU_DEP_1) | instskip(NEXT) | instid1(VALU_DEP_2)
	v_add_co_u32 v88, vcc_lo, s8, v88
	v_add_co_ci_u32_e32 v89, vcc_lo, s9, v89, vcc_lo
	global_load_b64 v[88:89], v[88:89], off
	s_waitcnt vmcnt(5)
	v_mul_f64 v[76:77], v[76:77], v[84:85]
	s_waitcnt vmcnt(3)
	v_add_f64 v[16:17], v[96:97], -v[120:121]
	v_add_f64 v[96:97], v[100:101], -v[96:97]
	v_add3_u32 v100, v20, v162, s17
	s_delay_alu instid0(VALU_DEP_1) | instskip(SKIP_4) | instid1(VALU_DEP_1)
	v_ashrrev_i32_e32 v101, 31, v100
	s_waitcnt vmcnt(1)
	v_add_f64 v[48:49], v[151:152], -v[0:1]
	v_add_f64 v[0:1], v[183:184], -v[0:1]
	v_mul_f64 v[16:17], v[16:17], s[0:1]
	v_fma_f64 v[16:17], v[48:49], s[2:3], v[16:17]
	v_mul_f64 v[48:49], v[50:51], v[90:91]
	v_add_nc_u32_e32 v90, s21, v114
	s_delay_alu instid0(VALU_DEP_1) | instskip(NEXT) | instid1(VALU_DEP_1)
	v_ashrrev_i32_e32 v91, 31, v90
	v_lshlrev_b64 v[90:91], 3, v[90:91]
	s_delay_alu instid0(VALU_DEP_1) | instskip(NEXT) | instid1(VALU_DEP_2)
	v_add_co_u32 v90, vcc_lo, s8, v90
	v_add_co_ci_u32_e32 v91, vcc_lo, s9, v91, vcc_lo
	v_add_co_u32 v169, vcc_lo, s8, v169
	v_add_co_ci_u32_e32 v170, vcc_lo, s9, v170, vcc_lo
	global_load_b64 v[90:91], v[90:91], off
	v_add_co_u32 v166, vcc_lo, s8, v166
	v_add_co_ci_u32_e32 v167, vcc_lo, s9, v167, vcc_lo
	s_clause 0x1
	global_load_b64 v[169:170], v[169:170], off
	global_load_b64 v[166:167], v[166:167], off
	v_mul_f64 v[16:17], v[76:77], v[16:17]
	v_mul_f64 v[48:49], v[48:49], v[84:85]
	s_waitcnt vmcnt(2)
	v_add_f64 v[114:115], v[88:89], -v[90:91]
	s_waitcnt vmcnt(0)
	v_add_f64 v[2:3], v[169:170], -v[166:167]
	s_delay_alu instid0(VALU_DEP_2) | instskip(NEXT) | instid1(VALU_DEP_1)
	v_mul_f64 v[114:115], v[114:115], s[0:1]
	v_fma_f64 v[2:3], v[2:3], s[2:3], v[114:115]
	s_delay_alu instid0(VALU_DEP_1) | instskip(SKIP_1) | instid1(VALU_DEP_2)
	v_mul_f64 v[2:3], v[48:49], v[2:3]
	v_add_f64 v[48:49], v[122:123], -v[116:117]
	v_mul_f64 v[2:3], v[12:13], v[2:3]
	v_add_nc_u32_e32 v12, s20, v168
	s_delay_alu instid0(VALU_DEP_3) | instskip(NEXT) | instid1(VALU_DEP_2)
	v_mul_f64 v[48:49], v[48:49], s[0:1]
	v_ashrrev_i32_e32 v13, 31, v12
	s_delay_alu instid0(VALU_DEP_4) | instskip(NEXT) | instid1(VALU_DEP_3)
	v_mul_f64 v[2:3], v[56:57], v[2:3]
	v_fma_f64 v[48:49], v[96:97], s[2:3], v[48:49]
	s_delay_alu instid0(VALU_DEP_2) | instskip(NEXT) | instid1(VALU_DEP_4)
	v_fma_f64 v[2:3], v[56:57], v[16:17], v[2:3]
	v_lshlrev_b64 v[16:17], 3, v[12:13]
	v_subrev_nc_u32_e32 v12, s21, v12
	s_delay_alu instid0(VALU_DEP_1) | instskip(NEXT) | instid1(VALU_DEP_3)
	v_ashrrev_i32_e32 v13, 31, v12
	v_add_co_u32 v16, vcc_lo, s14, v16
	s_delay_alu instid0(VALU_DEP_4) | instskip(NEXT) | instid1(VALU_DEP_3)
	v_add_co_ci_u32_e32 v17, vcc_lo, s15, v17, vcc_lo
	v_lshlrev_b64 v[12:13], 3, v[12:13]
	global_load_b64 v[16:17], v[16:17], off
	v_add_co_u32 v12, vcc_lo, s14, v12
	v_add_co_ci_u32_e32 v13, vcc_lo, s15, v13, vcc_lo
	global_load_b64 v[12:13], v[12:13], off
	v_add_f64 v[2:3], v[102:103], -v[2:3]
	s_delay_alu instid0(VALU_DEP_1)
	v_fma_f64 v[2:3], v[2:3], s[2:3], v[143:144]
	s_waitcnt vmcnt(1)
	v_mul_f64 v[16:17], v[72:73], v[16:17]
	s_waitcnt vmcnt(0)
	v_mul_f64 v[12:13], v[72:73], v[12:13]
	v_add_f64 v[72:73], v[135:136], -v[110:111]
	s_delay_alu instid0(VALU_DEP_3) | instskip(NEXT) | instid1(VALU_DEP_3)
	v_mul_f64 v[16:17], v[74:75], v[16:17]
	v_mul_f64 v[12:13], v[74:75], v[12:13]
	s_delay_alu instid0(VALU_DEP_3) | instskip(SKIP_1) | instid1(VALU_DEP_1)
	v_mul_f64 v[72:73], v[72:73], s[0:1]
	v_add_f64 v[74:75], v[185:186], -v[88:89]
	v_fma_f64 v[72:73], v[74:75], s[2:3], v[72:73]
	s_delay_alu instid0(VALU_DEP_1) | instskip(SKIP_1) | instid1(VALU_DEP_2)
	v_mul_f64 v[12:13], v[72:73], v[12:13]
	v_add_f64 v[72:73], v[106:107], -v[120:121]
	v_mul_f64 v[12:13], v[52:53], v[12:13]
	v_add_f64 v[52:53], v[125:126], -v[128:129]
	s_delay_alu instid0(VALU_DEP_2) | instskip(SKIP_1) | instid1(VALU_DEP_3)
	v_fma_f64 v[12:13], v[48:49], v[16:17], v[12:13]
	v_add_nc_u32_e32 v16, s20, v164
	v_mul_f64 v[52:53], v[52:53], s[0:1]
	s_delay_alu instid0(VALU_DEP_2) | instskip(NEXT) | instid1(VALU_DEP_1)
	v_ashrrev_i32_e32 v17, 31, v16
	v_lshlrev_b64 v[48:49], 3, v[16:17]
	v_subrev_nc_u32_e32 v16, s21, v16
	s_delay_alu instid0(VALU_DEP_1) | instskip(NEXT) | instid1(VALU_DEP_3)
	v_ashrrev_i32_e32 v17, 31, v16
	v_add_co_u32 v48, vcc_lo, s14, v48
	s_delay_alu instid0(VALU_DEP_4) | instskip(NEXT) | instid1(VALU_DEP_3)
	v_add_co_ci_u32_e32 v49, vcc_lo, s15, v49, vcc_lo
	v_lshlrev_b64 v[16:17], 3, v[16:17]
	global_load_b64 v[48:49], v[48:49], off
	v_add_co_u32 v16, vcc_lo, s14, v16
	v_add_co_ci_u32_e32 v17, vcc_lo, s15, v17, vcc_lo
	global_load_b64 v[16:17], v[16:17], off
	v_fma_f64 v[52:53], v[72:73], s[2:3], v[52:53]
	s_waitcnt vmcnt(1)
	v_mul_f64 v[48:49], v[62:63], v[48:49]
	s_waitcnt vmcnt(0)
	v_mul_f64 v[16:17], v[62:63], v[16:17]
	v_add_f64 v[62:63], v[137:138], -v[172:173]
	s_delay_alu instid0(VALU_DEP_3) | instskip(NEXT) | instid1(VALU_DEP_3)
	v_mul_f64 v[48:49], v[64:65], v[48:49]
	v_mul_f64 v[16:17], v[64:65], v[16:17]
	s_delay_alu instid0(VALU_DEP_3) | instskip(SKIP_1) | instid1(VALU_DEP_1)
	v_mul_f64 v[62:63], v[62:63], s[0:1]
	v_add_f64 v[64:65], v[187:188], -v[90:91]
	v_fma_f64 v[62:63], v[64:65], s[2:3], v[62:63]
	s_delay_alu instid0(VALU_DEP_1) | instskip(SKIP_1) | instid1(VALU_DEP_2)
	v_mul_f64 v[16:17], v[62:63], v[16:17]
	v_add_f64 v[62:63], v[174:175], -v[169:170]
	v_mul_f64 v[8:9], v[8:9], v[16:17]
	s_delay_alu instid0(VALU_DEP_1) | instskip(SKIP_2) | instid1(VALU_DEP_3)
	v_fma_f64 v[8:9], v[52:53], v[48:49], v[8:9]
	v_add_f64 v[48:49], v[130:131], -v[146:147]
	v_add_f64 v[52:53], v[180:181], -v[151:152]
	;; [unrolled: 1-line block ×3, first 2 shown]
	v_add_nc_u32_e32 v12, s20, v165
	s_delay_alu instid0(VALU_DEP_4) | instskip(NEXT) | instid1(VALU_DEP_2)
	v_mul_f64 v[48:49], v[48:49], s[0:1]
	v_ashrrev_i32_e32 v13, 31, v12
	s_delay_alu instid0(VALU_DEP_1) | instskip(SKIP_1) | instid1(VALU_DEP_1)
	v_lshlrev_b64 v[16:17], 3, v[12:13]
	v_subrev_nc_u32_e32 v12, s21, v12
	v_ashrrev_i32_e32 v13, 31, v12
	s_delay_alu instid0(VALU_DEP_3) | instskip(NEXT) | instid1(VALU_DEP_4)
	v_add_co_u32 v16, vcc_lo, s14, v16
	v_add_co_ci_u32_e32 v17, vcc_lo, s15, v17, vcc_lo
	s_delay_alu instid0(VALU_DEP_3)
	v_lshlrev_b64 v[12:13], 3, v[12:13]
	global_load_b64 v[16:17], v[16:17], off
	v_add_co_u32 v12, vcc_lo, s14, v12
	v_add_co_ci_u32_e32 v13, vcc_lo, s15, v13, vcc_lo
	global_load_b64 v[12:13], v[12:13], off
	v_mul_f64 v[8:9], v[8:9], s[0:1]
	v_fma_f64 v[48:49], v[52:53], s[2:3], v[48:49]
	v_add_f64 v[52:53], v[139:140], -v[176:177]
	s_delay_alu instid0(VALU_DEP_1) | instskip(NEXT) | instid1(VALU_DEP_1)
	v_mul_f64 v[52:53], v[52:53], s[0:1]
	v_fma_f64 v[52:53], v[62:63], s[2:3], v[52:53]
	s_waitcnt vmcnt(1)
	v_mul_f64 v[16:17], v[66:67], v[16:17]
	s_waitcnt vmcnt(0)
	v_mul_f64 v[12:13], v[66:67], v[12:13]
	s_delay_alu instid0(VALU_DEP_2) | instskip(NEXT) | instid1(VALU_DEP_2)
	v_mul_f64 v[16:17], v[68:69], v[16:17]
	v_mul_f64 v[12:13], v[68:69], v[12:13]
	v_add3_u32 v68, v159, v161, s17
	s_delay_alu instid0(VALU_DEP_1) | instskip(NEXT) | instid1(VALU_DEP_3)
	v_ashrrev_i32_e32 v69, 31, v68
	v_mul_f64 v[12:13], v[52:53], v[12:13]
	v_add_f64 v[52:53], v[141:142], -v[178:179]
	s_delay_alu instid0(VALU_DEP_2) | instskip(SKIP_1) | instid1(VALU_DEP_3)
	v_mul_f64 v[12:13], v[14:15], v[12:13]
	v_add_nc_u32_e32 v14, s20, v163
	v_mul_f64 v[52:53], v[52:53], s[0:1]
	s_delay_alu instid0(VALU_DEP_2) | instskip(NEXT) | instid1(VALU_DEP_4)
	v_ashrrev_i32_e32 v15, 31, v14
	v_fma_f64 v[12:13], v[48:49], v[16:17], v[12:13]
	v_add_f64 v[48:49], v[133:134], -v[149:150]
	s_delay_alu instid0(VALU_DEP_3) | instskip(NEXT) | instid1(VALU_DEP_1)
	v_lshlrev_b64 v[15:16], 3, v[14:15]
	v_add_co_u32 v15, vcc_lo, s14, v15
	s_delay_alu instid0(VALU_DEP_2) | instskip(SKIP_2) | instid1(VALU_DEP_1)
	v_add_co_ci_u32_e32 v16, vcc_lo, s15, v16, vcc_lo
	global_load_b64 v[15:16], v[15:16], off
	v_mul_f64 v[48:49], v[48:49], s[0:1]
	v_fma_f64 v[0:1], v[0:1], s[2:3], v[48:49]
	v_subrev_nc_u32_e32 v48, s21, v14
	s_delay_alu instid0(VALU_DEP_1) | instskip(NEXT) | instid1(VALU_DEP_1)
	v_ashrrev_i32_e32 v49, 31, v48
	v_lshlrev_b64 v[48:49], 3, v[48:49]
	s_delay_alu instid0(VALU_DEP_1) | instskip(NEXT) | instid1(VALU_DEP_2)
	v_add_co_u32 v48, vcc_lo, s14, v48
	v_add_co_ci_u32_e32 v49, vcc_lo, s15, v49, vcc_lo
	global_load_b64 v[48:49], v[48:49], off
	s_waitcnt vmcnt(1)
	v_mul_f64 v[15:16], v[58:59], v[15:16]
	s_delay_alu instid0(VALU_DEP_1) | instskip(SKIP_3) | instid1(VALU_DEP_2)
	v_mul_f64 v[15:16], v[60:61], v[15:16]
	s_waitcnt vmcnt(0)
	v_mul_f64 v[48:49], v[58:59], v[48:49]
	v_add_f64 v[58:59], v[189:190], -v[166:167]
	v_mul_f64 v[48:49], v[60:61], v[48:49]
	s_delay_alu instid0(VALU_DEP_2) | instskip(NEXT) | instid1(VALU_DEP_1)
	v_fma_f64 v[52:53], v[58:59], s[2:3], v[52:53]
	v_mul_f64 v[48:49], v[52:53], v[48:49]
	s_delay_alu instid0(VALU_DEP_1) | instskip(NEXT) | instid1(VALU_DEP_1)
	v_mul_f64 v[10:11], v[10:11], v[48:49]
	v_fma_f64 v[0:1], v[0:1], v[15:16], v[10:11]
	v_add3_u32 v16, v20, v171, s17
	s_delay_alu instid0(VALU_DEP_1) | instskip(NEXT) | instid1(VALU_DEP_3)
	v_ashrrev_i32_e32 v17, 31, v16
	v_add_f64 v[0:1], v[12:13], -v[0:1]
	s_delay_alu instid0(VALU_DEP_1) | instskip(NEXT) | instid1(VALU_DEP_1)
	v_fma_f64 v[0:1], v[0:1], s[2:3], v[8:9]
	v_fma_f64 v[64:65], v[56:57], v[0:1], v[2:3]
	v_add3_u32 v2, v159, v171, s17
	v_mul_f64 v[0:1], v[98:99], v[108:109]
	s_delay_alu instid0(VALU_DEP_2) | instskip(NEXT) | instid1(VALU_DEP_1)
	v_ashrrev_i32_e32 v3, 31, v2
	v_lshlrev_b64 v[8:9], 3, v[2:3]
	v_subrev_nc_u32_e32 v2, s16, v2
	s_delay_alu instid0(VALU_DEP_2) | instskip(NEXT) | instid1(VALU_DEP_3)
	v_add_co_u32 v8, vcc_lo, s8, v8
	v_add_co_ci_u32_e32 v9, vcc_lo, s9, v9, vcc_lo
	s_delay_alu instid0(VALU_DEP_3) | instskip(SKIP_3) | instid1(VALU_DEP_2)
	v_ashrrev_i32_e32 v3, 31, v2
	global_load_b64 v[58:59], v[8:9], off
	v_add3_u32 v8, v157, v171, s17
	v_lshlrev_b64 v[2:3], 3, v[2:3]
	v_ashrrev_i32_e32 v9, 31, v8
	s_delay_alu instid0(VALU_DEP_1) | instskip(SKIP_1) | instid1(VALU_DEP_2)
	v_lshlrev_b64 v[9:10], 3, v[8:9]
	v_mul_f64 v[0:1], v[0:1], v[118:119]
	v_add_co_u32 v9, vcc_lo, s8, v9
	s_delay_alu instid0(VALU_DEP_3) | instskip(SKIP_3) | instid1(VALU_DEP_1)
	v_add_co_ci_u32_e32 v10, vcc_lo, s9, v10, vcc_lo
	global_load_b64 v[56:57], v[9:10], off
	s_waitcnt vmcnt(0)
	v_add_f64 v[9:10], v[58:59], -v[56:57]
	v_mul_f64 v[14:15], v[9:10], s[0:1]
	v_add3_u32 v9, v158, v171, s17
	s_delay_alu instid0(VALU_DEP_1) | instskip(NEXT) | instid1(VALU_DEP_1)
	v_ashrrev_i32_e32 v10, 31, v9
	v_lshlrev_b64 v[10:11], 3, v[9:10]
	s_delay_alu instid0(VALU_DEP_1) | instskip(NEXT) | instid1(VALU_DEP_2)
	v_add_co_u32 v10, vcc_lo, s8, v10
	v_add_co_ci_u32_e32 v11, vcc_lo, s9, v11, vcc_lo
	global_load_b64 v[12:13], v[10:11], off
	v_lshlrev_b64 v[10:11], 3, v[16:17]
	s_delay_alu instid0(VALU_DEP_1) | instskip(NEXT) | instid1(VALU_DEP_2)
	v_add_co_u32 v10, vcc_lo, s8, v10
	v_add_co_ci_u32_e32 v11, vcc_lo, s9, v11, vcc_lo
	v_add_co_u32 v2, vcc_lo, s8, v2
	v_add_co_ci_u32_e32 v3, vcc_lo, s9, v3, vcc_lo
	s_clause 0x1
	global_load_b64 v[10:11], v[10:11], off
	global_load_b64 v[60:61], v[2:3], off
	v_subrev_nc_u32_e32 v2, s16, v8
	v_subrev_nc_u32_e32 v8, s16, v9
	s_delay_alu instid0(VALU_DEP_2) | instskip(NEXT) | instid1(VALU_DEP_2)
	v_ashrrev_i32_e32 v3, 31, v2
	v_ashrrev_i32_e32 v9, 31, v8
	s_delay_alu instid0(VALU_DEP_2) | instskip(NEXT) | instid1(VALU_DEP_2)
	v_lshlrev_b64 v[2:3], 3, v[2:3]
	v_lshlrev_b64 v[8:9], 3, v[8:9]
	s_delay_alu instid0(VALU_DEP_2) | instskip(NEXT) | instid1(VALU_DEP_3)
	v_add_co_u32 v2, vcc_lo, s8, v2
	v_add_co_ci_u32_e32 v3, vcc_lo, s9, v3, vcc_lo
	s_delay_alu instid0(VALU_DEP_3) | instskip(NEXT) | instid1(VALU_DEP_4)
	v_add_co_u32 v8, vcc_lo, s8, v8
	v_add_co_ci_u32_e32 v9, vcc_lo, s9, v9, vcc_lo
	global_load_b64 v[52:53], v[2:3], off
	s_waitcnt vmcnt(2)
	v_add_f64 v[48:49], v[12:13], -v[10:11]
	s_delay_alu instid0(VALU_DEP_1) | instskip(NEXT) | instid1(VALU_DEP_1)
	v_fma_f64 v[14:15], v[48:49], s[2:3], v[14:15]
	v_mul_f64 v[0:1], v[0:1], v[14:15]
	global_load_b64 v[14:15], v[8:9], off
	v_subrev_nc_u32_e32 v8, s16, v16
	s_waitcnt vmcnt(1)
	v_add_f64 v[2:3], v[60:61], -v[52:53]
	s_delay_alu instid0(VALU_DEP_2) | instskip(NEXT) | instid1(VALU_DEP_1)
	v_ashrrev_i32_e32 v9, 31, v8
	v_lshlrev_b64 v[8:9], 3, v[8:9]
	s_delay_alu instid0(VALU_DEP_1) | instskip(NEXT) | instid1(VALU_DEP_2)
	v_add_co_u32 v8, vcc_lo, s8, v8
	v_add_co_ci_u32_e32 v9, vcc_lo, s9, v9, vcc_lo
	global_load_b64 v[8:9], v[8:9], off
	v_mul_f64 v[0:1], v[4:5], v[0:1]
	v_mul_f64 v[2:3], v[2:3], s[0:1]
	s_waitcnt vmcnt(0)
	v_add_f64 v[16:17], v[14:15], -v[8:9]
	s_delay_alu instid0(VALU_DEP_1) | instskip(SKIP_1) | instid1(VALU_DEP_1)
	v_fma_f64 v[2:3], v[16:17], s[2:3], v[2:3]
	v_add3_u32 v16, v158, v161, s17
	v_ashrrev_i32_e32 v17, 31, v16
	s_delay_alu instid0(VALU_DEP_1) | instskip(SKIP_1) | instid1(VALU_DEP_1)
	v_lshlrev_b64 v[48:49], 3, v[16:17]
	v_subrev_nc_u32_e32 v16, s16, v16
	v_ashrrev_i32_e32 v17, 31, v16
	s_delay_alu instid0(VALU_DEP_1) | instskip(SKIP_1) | instid1(VALU_DEP_1)
	v_lshlrev_b64 v[16:17], 3, v[16:17]
	v_mul_f64 v[2:3], v[112:113], v[2:3]
	v_mul_f64 v[2:3], v[18:19], v[2:3]
	s_delay_alu instid0(VALU_DEP_1) | instskip(SKIP_2) | instid1(VALU_DEP_1)
	v_fma_f64 v[66:67], v[18:19], v[0:1], v[2:3]
	v_mul_f64 v[0:1], v[82:83], v[104:105]
	v_add3_u32 v104, v20, v160, s17
	v_ashrrev_i32_e32 v105, 31, v104
	s_delay_alu instid0(VALU_DEP_3) | instskip(SKIP_2) | instid1(VALU_DEP_2)
	v_mul_f64 v[72:73], v[0:1], v[94:95]
	v_lshlrev_b64 v[0:1], 3, v[68:69]
	v_subrev_nc_u32_e32 v68, s16, v68
	v_add_co_u32 v0, vcc_lo, s8, v0
	s_delay_alu instid0(VALU_DEP_3) | instskip(NEXT) | instid1(VALU_DEP_3)
	v_add_co_ci_u32_e32 v1, vcc_lo, s9, v1, vcc_lo
	v_ashrrev_i32_e32 v69, 31, v68
	global_load_b64 v[62:63], v[0:1], off
	v_add3_u32 v0, v157, v161, s17
	v_lshlrev_b64 v[68:69], 3, v[68:69]
	s_delay_alu instid0(VALU_DEP_2) | instskip(NEXT) | instid1(VALU_DEP_1)
	v_ashrrev_i32_e32 v1, 31, v0
	v_lshlrev_b64 v[1:2], 3, v[0:1]
	s_delay_alu instid0(VALU_DEP_1) | instskip(NEXT) | instid1(VALU_DEP_2)
	v_add_co_u32 v1, vcc_lo, s8, v1
	v_add_co_ci_u32_e32 v2, vcc_lo, s9, v2, vcc_lo
	v_add_co_u32 v48, vcc_lo, s8, v48
	v_add_co_ci_u32_e32 v49, vcc_lo, s9, v49, vcc_lo
	s_clause 0x1
	global_load_b64 v[90:91], v[1:2], off
	global_load_b64 v[82:83], v[48:49], off
	v_add3_u32 v48, v20, v161, s17
	scratch_load_b32 v20, off, off offset:12 ; 4-byte Folded Reload
	v_ashrrev_i32_e32 v49, 31, v48
	s_delay_alu instid0(VALU_DEP_1) | instskip(NEXT) | instid1(VALU_DEP_1)
	v_lshlrev_b64 v[74:75], 3, v[48:49]
	v_add_co_u32 v74, vcc_lo, s8, v74
	s_delay_alu instid0(VALU_DEP_2)
	v_add_co_ci_u32_e32 v75, vcc_lo, s9, v75, vcc_lo
	v_add_co_u32 v68, vcc_lo, s8, v68
	v_add_co_ci_u32_e32 v69, vcc_lo, s9, v69, vcc_lo
	s_clause 0x1
	global_load_b64 v[74:75], v[74:75], off
	global_load_b64 v[94:95], v[68:69], off
	v_subrev_nc_u32_e32 v68, s16, v0
	s_delay_alu instid0(VALU_DEP_1) | instskip(NEXT) | instid1(VALU_DEP_1)
	v_ashrrev_i32_e32 v69, 31, v68
	v_lshlrev_b64 v[68:69], 3, v[68:69]
	s_delay_alu instid0(VALU_DEP_1) | instskip(NEXT) | instid1(VALU_DEP_2)
	v_add_co_u32 v68, vcc_lo, s8, v68
	v_add_co_ci_u32_e32 v69, vcc_lo, s9, v69, vcc_lo
	v_add_co_u32 v16, vcc_lo, s8, v16
	v_add_co_ci_u32_e32 v17, vcc_lo, s9, v17, vcc_lo
	s_waitcnt vmcnt(4)
	v_add_f64 v[1:2], v[62:63], -v[90:91]
	s_waitcnt vmcnt(3)
	v_add_f64 v[12:13], v[12:13], -v[82:83]
	;; [unrolled: 2-line block ×3, first 2 shown]
	v_add_f64 v[10:11], v[10:11], -v[74:75]
	s_delay_alu instid0(VALU_DEP_4) | instskip(NEXT) | instid1(VALU_DEP_4)
	v_mul_f64 v[1:2], v[1:2], s[0:1]
	v_mul_f64 v[12:13], v[12:13], s[0:1]
	s_delay_alu instid0(VALU_DEP_3) | instskip(NEXT) | instid1(VALU_DEP_3)
	v_mul_f64 v[10:11], v[10:11], s[0:1]
	v_fma_f64 v[1:2], v[88:89], s[2:3], v[1:2]
	global_load_b64 v[88:89], v[16:17], off
	v_subrev_nc_u32_e32 v16, s16, v48
	s_delay_alu instid0(VALU_DEP_1) | instskip(NEXT) | instid1(VALU_DEP_1)
	v_ashrrev_i32_e32 v17, 31, v16
	v_lshlrev_b64 v[16:17], 3, v[16:17]
	s_delay_alu instid0(VALU_DEP_1) | instskip(NEXT) | instid1(VALU_DEP_2)
	v_add_co_u32 v16, vcc_lo, s8, v16
	v_add_co_ci_u32_e32 v17, vcc_lo, s9, v17, vcc_lo
	v_mul_f64 v[1:2], v[72:73], v[1:2]
	global_load_b64 v[72:73], v[68:69], off
	v_mul_f64 v[1:2], v[4:5], v[1:2]
	s_waitcnt vmcnt(1)
	v_add_f64 v[14:15], v[14:15], -v[88:89]
	s_waitcnt vmcnt(0)
	v_add_f64 v[68:69], v[94:95], -v[72:73]
	s_delay_alu instid0(VALU_DEP_2) | instskip(NEXT) | instid1(VALU_DEP_2)
	v_mul_f64 v[14:15], v[14:15], s[0:1]
	v_mul_f64 v[96:97], v[68:69], s[0:1]
	global_load_b64 v[68:69], v[16:17], off
	s_waitcnt vmcnt(0)
	v_add_f64 v[16:17], v[88:89], -v[68:69]
	v_add_f64 v[8:9], v[8:9], -v[68:69]
	s_delay_alu instid0(VALU_DEP_2) | instskip(NEXT) | instid1(VALU_DEP_2)
	v_fma_f64 v[16:17], v[16:17], s[2:3], v[96:97]
	v_mul_f64 v[8:9], v[8:9], s[0:1]
	s_delay_alu instid0(VALU_DEP_2) | instskip(NEXT) | instid1(VALU_DEP_1)
	v_mul_f64 v[16:17], v[92:93], v[16:17]
	v_mul_f64 v[16:17], v[18:19], v[16:17]
	s_delay_alu instid0(VALU_DEP_1) | instskip(SKIP_1) | instid1(VALU_DEP_1)
	v_fma_f64 v[0:1], v[18:19], v[1:2], v[16:17]
	v_add3_u32 v2, v159, v162, s17
	v_ashrrev_i32_e32 v3, 31, v2
	s_delay_alu instid0(VALU_DEP_1) | instskip(SKIP_1) | instid1(VALU_DEP_2)
	v_lshlrev_b64 v[16:17], 3, v[2:3]
	v_subrev_nc_u32_e32 v2, s16, v2
	v_add_co_u32 v16, vcc_lo, s8, v16
	s_delay_alu instid0(VALU_DEP_3) | instskip(NEXT) | instid1(VALU_DEP_3)
	v_add_co_ci_u32_e32 v17, vcc_lo, s9, v17, vcc_lo
	v_ashrrev_i32_e32 v3, 31, v2
	global_load_b64 v[98:99], v[16:17], off
	v_add3_u32 v16, v157, v162, s17
	v_lshlrev_b64 v[2:3], 3, v[2:3]
	s_delay_alu instid0(VALU_DEP_2) | instskip(NEXT) | instid1(VALU_DEP_1)
	v_ashrrev_i32_e32 v17, 31, v16
	v_lshlrev_b64 v[48:49], 3, v[16:17]
	v_subrev_nc_u32_e32 v16, s16, v16
	v_add_f64 v[0:1], v[66:67], -v[0:1]
	s_delay_alu instid0(VALU_DEP_3) | instskip(NEXT) | instid1(VALU_DEP_4)
	v_add_co_u32 v48, vcc_lo, s8, v48
	v_add_co_ci_u32_e32 v49, vcc_lo, s9, v49, vcc_lo
	s_delay_alu instid0(VALU_DEP_4)
	v_ashrrev_i32_e32 v17, 31, v16
	global_load_b64 v[92:93], v[48:49], off
	v_lshlrev_b64 v[16:17], 3, v[16:17]
	v_fma_f64 v[96:97], v[0:1], s[0:1], v[64:65]
	v_add3_u32 v64, v158, v162, s17
	v_mul_f64 v[0:1], v[54:55], v[78:79]
	s_delay_alu instid0(VALU_DEP_2) | instskip(NEXT) | instid1(VALU_DEP_1)
	v_ashrrev_i32_e32 v65, 31, v64
	v_lshlrev_b64 v[54:55], 3, v[64:65]
	s_delay_alu instid0(VALU_DEP_1) | instskip(NEXT) | instid1(VALU_DEP_2)
	v_add_co_u32 v54, vcc_lo, s8, v54
	v_add_co_ci_u32_e32 v55, vcc_lo, s9, v55, vcc_lo
	global_load_b64 v[66:67], v[54:55], off
	v_lshlrev_b64 v[54:55], 3, v[100:101]
	s_delay_alu instid0(VALU_DEP_1) | instskip(NEXT) | instid1(VALU_DEP_2)
	v_add_co_u32 v54, vcc_lo, s8, v54
	v_add_co_ci_u32_e32 v55, vcc_lo, s9, v55, vcc_lo
	v_add_co_u32 v2, vcc_lo, s8, v2
	v_add_co_ci_u32_e32 v3, vcc_lo, s9, v3, vcc_lo
	global_load_b64 v[54:55], v[54:55], off
	v_add_co_u32 v16, vcc_lo, s8, v16
	v_add_co_ci_u32_e32 v17, vcc_lo, s9, v17, vcc_lo
	v_mul_f64 v[0:1], v[0:1], v[86:87]
	s_clause 0x1
	global_load_b64 v[2:3], v[2:3], off
	global_load_b64 v[86:87], v[16:17], off
	s_waitcnt vmcnt(4)
	v_add_f64 v[48:49], v[98:99], -v[92:93]
	s_delay_alu instid0(VALU_DEP_1) | instskip(SKIP_4) | instid1(VALU_DEP_2)
	v_mul_f64 v[48:49], v[48:49], s[0:1]
	s_waitcnt vmcnt(2)
	v_add_f64 v[78:79], v[66:67], -v[54:55]
	s_waitcnt vmcnt(0)
	v_add_f64 v[16:17], v[2:3], -v[86:87]
	v_fma_f64 v[48:49], v[78:79], s[2:3], v[48:49]
	s_delay_alu instid0(VALU_DEP_2) | instskip(NEXT) | instid1(VALU_DEP_2)
	v_mul_f64 v[16:17], v[16:17], s[0:1]
	v_mul_f64 v[0:1], v[0:1], v[48:49]
	v_subrev_nc_u32_e32 v48, s16, v64
	s_delay_alu instid0(VALU_DEP_1) | instskip(NEXT) | instid1(VALU_DEP_1)
	v_ashrrev_i32_e32 v49, 31, v48
	v_lshlrev_b64 v[48:49], 3, v[48:49]
	s_delay_alu instid0(VALU_DEP_1) | instskip(NEXT) | instid1(VALU_DEP_2)
	v_add_co_u32 v48, vcc_lo, s8, v48
	v_add_co_ci_u32_e32 v49, vcc_lo, s9, v49, vcc_lo
	global_load_b64 v[78:79], v[48:49], off
	v_subrev_nc_u32_e32 v48, s16, v100
	s_delay_alu instid0(VALU_DEP_1) | instskip(NEXT) | instid1(VALU_DEP_1)
	v_ashrrev_i32_e32 v49, 31, v48
	v_lshlrev_b64 v[48:49], 3, v[48:49]
	v_mul_f64 v[0:1], v[4:5], v[0:1]
	s_delay_alu instid0(VALU_DEP_2) | instskip(NEXT) | instid1(VALU_DEP_3)
	v_add_co_u32 v48, vcc_lo, s8, v48
	v_add_co_ci_u32_e32 v49, vcc_lo, s9, v49, vcc_lo
	global_load_b64 v[64:65], v[48:49], off
	s_waitcnt vmcnt(0)
	v_add_f64 v[48:49], v[78:79], -v[64:65]
	s_delay_alu instid0(VALU_DEP_1) | instskip(SKIP_1) | instid1(VALU_DEP_1)
	v_fma_f64 v[16:17], v[48:49], s[2:3], v[16:17]
	v_add3_u32 v48, v159, v160, s17
	v_ashrrev_i32_e32 v49, 31, v48
	s_delay_alu instid0(VALU_DEP_3) | instskip(NEXT) | instid1(VALU_DEP_1)
	v_mul_f64 v[16:17], v[80:81], v[16:17]
	v_mul_f64 v[16:17], v[18:19], v[16:17]
	s_delay_alu instid0(VALU_DEP_1) | instskip(SKIP_2) | instid1(VALU_DEP_1)
	v_fma_f64 v[0:1], v[18:19], v[0:1], v[16:17]
	v_mul_f64 v[16:17], v[50:51], v[70:71]
	v_lshlrev_b64 v[49:50], 3, v[48:49]
	v_add_co_u32 v49, vcc_lo, s8, v49
	s_delay_alu instid0(VALU_DEP_2) | instskip(SKIP_2) | instid1(VALU_DEP_1)
	v_add_co_ci_u32_e32 v50, vcc_lo, s9, v50, vcc_lo
	global_load_b64 v[100:101], v[49:50], off
	v_add3_u32 v49, v157, v160, s17
	v_ashrrev_i32_e32 v50, 31, v49
	s_delay_alu instid0(VALU_DEP_1) | instskip(NEXT) | instid1(VALU_DEP_1)
	v_lshlrev_b64 v[50:51], 3, v[49:50]
	v_add_co_u32 v50, vcc_lo, s8, v50
	s_delay_alu instid0(VALU_DEP_2) | instskip(SKIP_3) | instid1(VALU_DEP_1)
	v_add_co_ci_u32_e32 v51, vcc_lo, s9, v51, vcc_lo
	global_load_b64 v[102:103], v[50:51], off
	v_mul_f64 v[16:17], v[16:17], v[84:85]
	v_add3_u32 v84, v158, v160, s17
	v_ashrrev_i32_e32 v85, 31, v84
	s_delay_alu instid0(VALU_DEP_1) | instskip(NEXT) | instid1(VALU_DEP_1)
	v_lshlrev_b64 v[70:71], 3, v[84:85]
	v_add_co_u32 v70, vcc_lo, s8, v70
	s_delay_alu instid0(VALU_DEP_2) | instskip(SKIP_2) | instid1(VALU_DEP_1)
	v_add_co_ci_u32_e32 v71, vcc_lo, s9, v71, vcc_lo
	global_load_b64 v[80:81], v[70:71], off
	v_lshlrev_b64 v[70:71], 3, v[104:105]
	v_add_co_u32 v70, vcc_lo, s8, v70
	s_delay_alu instid0(VALU_DEP_2) | instskip(SKIP_3) | instid1(VALU_DEP_1)
	v_add_co_ci_u32_e32 v71, vcc_lo, s9, v71, vcc_lo
	global_load_b64 v[70:71], v[70:71], off
	s_waitcnt vmcnt(2)
	v_add_f64 v[50:51], v[100:101], -v[102:103]
	v_mul_f64 v[50:51], v[50:51], s[0:1]
	s_waitcnt vmcnt(0)
	v_add_f64 v[105:106], v[80:81], -v[70:71]
	s_delay_alu instid0(VALU_DEP_1) | instskip(NEXT) | instid1(VALU_DEP_1)
	v_fma_f64 v[50:51], v[105:106], s[2:3], v[50:51]
	v_mul_f64 v[16:17], v[16:17], v[50:51]
	s_delay_alu instid0(VALU_DEP_1) | instskip(SKIP_2) | instid1(VALU_DEP_2)
	v_mul_f64 v[4:5], v[4:5], v[16:17]
	v_subrev_nc_u32_e32 v16, s16, v48
	v_subrev_nc_u32_e32 v48, s16, v49
	v_ashrrev_i32_e32 v17, 31, v16
	s_delay_alu instid0(VALU_DEP_2) | instskip(NEXT) | instid1(VALU_DEP_2)
	v_ashrrev_i32_e32 v49, 31, v48
	v_lshlrev_b64 v[16:17], 3, v[16:17]
	s_delay_alu instid0(VALU_DEP_2) | instskip(NEXT) | instid1(VALU_DEP_2)
	v_lshlrev_b64 v[48:49], 3, v[48:49]
	v_add_co_u32 v16, vcc_lo, s8, v16
	s_delay_alu instid0(VALU_DEP_3) | instskip(NEXT) | instid1(VALU_DEP_3)
	v_add_co_ci_u32_e32 v17, vcc_lo, s9, v17, vcc_lo
	v_add_co_u32 v48, vcc_lo, s8, v48
	s_delay_alu instid0(VALU_DEP_4)
	v_add_co_ci_u32_e32 v49, vcc_lo, s9, v49, vcc_lo
	s_clause 0x1
	global_load_b64 v[16:17], v[16:17], off
	global_load_b64 v[48:49], v[48:49], off
	s_waitcnt vmcnt(1)
	v_add_f64 v[2:3], v[2:3], -v[16:17]
	s_waitcnt vmcnt(0)
	v_add_f64 v[50:51], v[16:17], -v[48:49]
	v_add_f64 v[16:17], v[56:57], -v[90:91]
	s_delay_alu instid0(VALU_DEP_2) | instskip(SKIP_1) | instid1(VALU_DEP_3)
	v_mul_f64 v[105:106], v[50:51], s[0:1]
	v_subrev_nc_u32_e32 v50, s16, v84
	v_mul_f64 v[16:17], v[16:17], s[0:1]
	s_delay_alu instid0(VALU_DEP_2) | instskip(NEXT) | instid1(VALU_DEP_1)
	v_ashrrev_i32_e32 v51, 31, v50
	v_lshlrev_b64 v[50:51], 3, v[50:51]
	s_delay_alu instid0(VALU_DEP_1) | instskip(NEXT) | instid1(VALU_DEP_2)
	v_add_co_u32 v50, vcc_lo, s8, v50
	v_add_co_ci_u32_e32 v51, vcc_lo, s9, v51, vcc_lo
	global_load_b64 v[84:85], v[50:51], off
	v_subrev_nc_u32_e32 v50, s16, v104
	s_delay_alu instid0(VALU_DEP_1) | instskip(NEXT) | instid1(VALU_DEP_1)
	v_ashrrev_i32_e32 v51, 31, v50
	v_lshlrev_b64 v[50:51], 3, v[50:51]
	s_delay_alu instid0(VALU_DEP_1) | instskip(NEXT) | instid1(VALU_DEP_2)
	v_add_co_u32 v50, vcc_lo, s8, v50
	v_add_co_ci_u32_e32 v51, vcc_lo, s9, v51, vcc_lo
	global_load_b64 v[50:51], v[50:51], off
	s_waitcnt vmcnt(0)
	v_add_f64 v[107:108], v[84:85], -v[50:51]
	s_delay_alu instid0(VALU_DEP_1) | instskip(NEXT) | instid1(VALU_DEP_1)
	v_fma_f64 v[104:105], v[107:108], s[2:3], v[105:106]
	v_mul_f64 v[76:77], v[76:77], v[104:105]
	s_delay_alu instid0(VALU_DEP_1) | instskip(NEXT) | instid1(VALU_DEP_1)
	v_mul_f64 v[76:77], v[18:19], v[76:77]
	v_fma_f64 v[4:5], v[18:19], v[4:5], v[76:77]
	s_delay_alu instid0(VALU_DEP_1) | instskip(NEXT) | instid1(VALU_DEP_1)
	v_add_f64 v[0:1], v[0:1], -v[4:5]
	v_fma_f64 v[4:5], v[0:1], s[2:3], v[96:97]
	v_add_co_u32 v0, vcc_lo, s14, v46
	v_add_co_ci_u32_e32 v1, vcc_lo, s15, v47, vcc_lo
	v_add_f64 v[46:47], v[58:59], -v[62:63]
	v_add_f64 v[58:59], v[98:99], -v[100:101]
	global_load_b64 v[0:1], v[0:1], off
	v_mul_f64 v[46:47], v[46:47], s[0:1]
	s_delay_alu instid0(VALU_DEP_1) | instskip(SKIP_2) | instid1(VALU_DEP_1)
	v_fma_f64 v[46:47], v[58:59], s[2:3], v[46:47]
	s_waitcnt vmcnt(0)
	v_mul_f64 v[0:1], v[42:43], v[0:1]
	v_mul_f64 v[0:1], v[44:45], v[0:1]
	s_delay_alu instid0(VALU_DEP_1) | instskip(SKIP_1) | instid1(VALU_DEP_1)
	v_mul_f64 v[0:1], v[46:47], v[0:1]
	v_add_nc_u32_e32 v46, s20, v20
	v_ashrrev_i32_e32 v47, 31, v46
	s_delay_alu instid0(VALU_DEP_1) | instskip(NEXT) | instid1(VALU_DEP_1)
	v_lshlrev_b64 v[46:47], 3, v[46:47]
	v_add_co_u32 v46, vcc_lo, s14, v46
	s_delay_alu instid0(VALU_DEP_2) | instskip(SKIP_3) | instid1(VALU_DEP_1)
	v_add_co_ci_u32_e32 v47, vcc_lo, s15, v47, vcc_lo
	global_load_b64 v[46:47], v[46:47], off
	s_waitcnt vmcnt(0)
	v_mul_f64 v[42:43], v[42:43], v[46:47]
	v_mul_f64 v[42:43], v[44:45], v[42:43]
	v_add_f64 v[44:45], v[60:61], -v[94:95]
	s_delay_alu instid0(VALU_DEP_1) | instskip(NEXT) | instid1(VALU_DEP_1)
	v_mul_f64 v[44:45], v[44:45], s[0:1]
	v_fma_f64 v[2:3], v[2:3], s[2:3], v[44:45]
	s_delay_alu instid0(VALU_DEP_1) | instskip(NEXT) | instid1(VALU_DEP_1)
	v_mul_f64 v[2:3], v[2:3], v[42:43]
	v_fma_f64 v[0:1], v[28:29], v[0:1], v[2:3]
	v_add_co_u32 v2, vcc_lo, s14, v40
	v_add_co_ci_u32_e32 v3, vcc_lo, s15, v41, vcc_lo
	v_add_f64 v[28:29], v[92:93], -v[102:103]
	global_load_b64 v[2:3], v[2:3], off
	v_fma_f64 v[16:17], v[28:29], s[2:3], v[16:17]
	v_add_f64 v[28:29], v[52:53], -v[72:73]
	s_delay_alu instid0(VALU_DEP_1) | instskip(SKIP_2) | instid1(VALU_DEP_1)
	v_mul_f64 v[28:29], v[28:29], s[0:1]
	s_waitcnt vmcnt(0)
	v_mul_f64 v[2:3], v[36:37], v[2:3]
	v_mul_f64 v[2:3], v[30:31], v[2:3]
	s_delay_alu instid0(VALU_DEP_1) | instskip(SKIP_1) | instid1(VALU_DEP_1)
	v_mul_f64 v[2:3], v[16:17], v[2:3]
	v_add_nc_u32_e32 v16, s20, v191
	v_ashrrev_i32_e32 v17, 31, v16
	s_delay_alu instid0(VALU_DEP_1) | instskip(NEXT) | instid1(VALU_DEP_1)
	v_lshlrev_b64 v[16:17], 3, v[16:17]
	v_add_co_u32 v16, vcc_lo, s14, v16
	s_delay_alu instid0(VALU_DEP_2) | instskip(SKIP_3) | instid1(VALU_DEP_1)
	v_add_co_ci_u32_e32 v17, vcc_lo, s15, v17, vcc_lo
	global_load_b64 v[16:17], v[16:17], off
	s_waitcnt vmcnt(0)
	v_mul_f64 v[16:17], v[36:37], v[16:17]
	v_mul_f64 v[16:17], v[30:31], v[16:17]
	v_add_f64 v[30:31], v[86:87], -v[48:49]
	s_delay_alu instid0(VALU_DEP_1) | instskip(NEXT) | instid1(VALU_DEP_1)
	v_fma_f64 v[28:29], v[30:31], s[2:3], v[28:29]
	v_mul_f64 v[16:17], v[28:29], v[16:17]
	s_delay_alu instid0(VALU_DEP_1) | instskip(SKIP_1) | instid1(VALU_DEP_2)
	v_fma_f64 v[2:3], v[153:154], v[2:3], v[16:17]
	v_add_f64 v[16:17], v[66:67], -v[80:81]
	v_add_f64 v[0:1], v[0:1], -v[2:3]
	v_add_co_u32 v2, vcc_lo, s14, v38
	v_add_co_ci_u32_e32 v3, vcc_lo, s15, v39, vcc_lo
	s_delay_alu instid0(VALU_DEP_4)
	v_fma_f64 v[12:13], v[16:17], s[2:3], v[12:13]
	v_add_f64 v[16:17], v[78:79], -v[84:85]
	global_load_b64 v[2:3], v[2:3], off
	v_mul_f64 v[0:1], v[0:1], s[0:1]
	v_fma_f64 v[14:15], v[16:17], s[2:3], v[14:15]
	s_waitcnt vmcnt(0)
	v_mul_f64 v[2:3], v[32:33], v[2:3]
	s_delay_alu instid0(VALU_DEP_1) | instskip(NEXT) | instid1(VALU_DEP_1)
	v_mul_f64 v[2:3], v[34:35], v[2:3]
	v_mul_f64 v[2:3], v[12:13], v[2:3]
	v_add_nc_u32_e32 v12, s20, v21
	s_delay_alu instid0(VALU_DEP_1) | instskip(NEXT) | instid1(VALU_DEP_1)
	v_ashrrev_i32_e32 v13, 31, v12
	v_lshlrev_b64 v[12:13], 3, v[12:13]
	s_delay_alu instid0(VALU_DEP_1) | instskip(NEXT) | instid1(VALU_DEP_2)
	v_add_co_u32 v12, vcc_lo, s14, v12
	v_add_co_ci_u32_e32 v13, vcc_lo, s15, v13, vcc_lo
	global_load_b64 v[12:13], v[12:13], off
	s_waitcnt vmcnt(0)
	v_mul_f64 v[12:13], v[32:33], v[12:13]
	s_delay_alu instid0(VALU_DEP_1) | instskip(NEXT) | instid1(VALU_DEP_1)
	v_mul_f64 v[12:13], v[34:35], v[12:13]
	v_mul_f64 v[12:13], v[14:15], v[12:13]
	s_delay_alu instid0(VALU_DEP_1)
	v_fma_f64 v[6:7], v[6:7], v[2:3], v[12:13]
	v_add_co_u32 v2, vcc_lo, s14, v26
	v_add_co_ci_u32_e32 v3, vcc_lo, s15, v27, vcc_lo
	v_add_f64 v[12:13], v[54:55], -v[70:71]
	global_load_b64 v[2:3], v[2:3], off
	v_fma_f64 v[10:11], v[12:13], s[2:3], v[10:11]
	v_add_f64 v[12:13], v[64:65], -v[50:51]
	s_delay_alu instid0(VALU_DEP_1) | instskip(SKIP_2) | instid1(VALU_DEP_1)
	v_fma_f64 v[8:9], v[12:13], s[2:3], v[8:9]
	s_waitcnt vmcnt(0)
	v_mul_f64 v[2:3], v[24:25], v[2:3]
	v_mul_f64 v[2:3], v[22:23], v[2:3]
	s_delay_alu instid0(VALU_DEP_1) | instskip(SKIP_3) | instid1(VALU_DEP_1)
	v_mul_f64 v[2:3], v[10:11], v[2:3]
	scratch_load_b32 v10, off, off offset:8 ; 4-byte Folded Reload
	s_waitcnt vmcnt(0)
	v_add_nc_u32_e32 v10, s20, v10
	v_ashrrev_i32_e32 v11, 31, v10
	s_delay_alu instid0(VALU_DEP_1) | instskip(NEXT) | instid1(VALU_DEP_1)
	v_lshlrev_b64 v[10:11], 3, v[10:11]
	v_add_co_u32 v10, vcc_lo, s14, v10
	s_delay_alu instid0(VALU_DEP_2) | instskip(SKIP_3) | instid1(VALU_DEP_1)
	v_add_co_ci_u32_e32 v11, vcc_lo, s15, v11, vcc_lo
	global_load_b64 v[10:11], v[10:11], off
	s_waitcnt vmcnt(0)
	v_mul_f64 v[10:11], v[24:25], v[10:11]
	v_mul_f64 v[10:11], v[22:23], v[10:11]
	s_delay_alu instid0(VALU_DEP_1) | instskip(NEXT) | instid1(VALU_DEP_1)
	v_mul_f64 v[8:9], v[8:9], v[10:11]
	v_fma_f64 v[2:3], v[155:156], v[2:3], v[8:9]
	s_delay_alu instid0(VALU_DEP_1)
	v_add_f64 v[2:3], v[6:7], -v[2:3]
	scratch_load_b64 v[6:7], off, off       ; 8-byte Folded Reload
	v_fma_f64 v[0:1], v[2:3], s[2:3], v[0:1]
	scratch_load_b64 v[2:3], off, off offset:24 ; 8-byte Folded Reload
	v_fma_f64 v[0:1], v[18:19], v[0:1], v[4:5]
	s_waitcnt vmcnt(0)
	s_delay_alu instid0(VALU_DEP_1) | instskip(SKIP_2) | instid1(VALU_DEP_1)
	v_add_f64 v[0:1], v[2:3], v[0:1]
	scratch_load_b64 v[2:3], off, off offset:16 ; 8-byte Folded Reload
	v_mul_f64 v[0:1], v[0:1], s[6:7]
	v_mul_f64 v[0:1], v[6:7], v[0:1]
	s_waitcnt vmcnt(0)
	v_add_co_u32 v2, vcc_lo, s18, v2
	v_add_co_ci_u32_e32 v3, vcc_lo, s19, v3, vcc_lo
	global_load_b64 v[4:5], v[2:3], off
	s_waitcnt vmcnt(0)
	v_fma_f64 v[0:1], v[4:5], s[4:5], v[0:1]
	global_store_b64 v[2:3], v[0:1], off
.LBB3_2:
	s_endpgm
	.section	.rodata,"a",@progbits
	.p2align	6, 0x0
	.amdhsa_kernel _Z7kernel4iiiiiiiiiiiiddPKdS0_S0_S0_S0_PdS0_S0_S0_S0_S0_S0_S0_
		.amdhsa_group_segment_fixed_size 0
		.amdhsa_private_segment_fixed_size 36
		.amdhsa_kernarg_size 424
		.amdhsa_user_sgpr_count 13
		.amdhsa_user_sgpr_dispatch_ptr 0
		.amdhsa_user_sgpr_queue_ptr 0
		.amdhsa_user_sgpr_kernarg_segment_ptr 1
		.amdhsa_user_sgpr_dispatch_id 0
		.amdhsa_user_sgpr_private_segment_size 0
		.amdhsa_wavefront_size32 1
		.amdhsa_uses_dynamic_stack 0
		.amdhsa_enable_private_segment 1
		.amdhsa_system_sgpr_workgroup_id_x 1
		.amdhsa_system_sgpr_workgroup_id_y 1
		.amdhsa_system_sgpr_workgroup_id_z 1
		.amdhsa_system_sgpr_workgroup_info 0
		.amdhsa_system_vgpr_workitem_id 2
		.amdhsa_next_free_vgpr 192
		.amdhsa_next_free_sgpr 28
		.amdhsa_reserve_vcc 1
		.amdhsa_float_round_mode_32 0
		.amdhsa_float_round_mode_16_64 0
		.amdhsa_float_denorm_mode_32 3
		.amdhsa_float_denorm_mode_16_64 3
		.amdhsa_dx10_clamp 1
		.amdhsa_ieee_mode 1
		.amdhsa_fp16_overflow 0
		.amdhsa_workgroup_processor_mode 1
		.amdhsa_memory_ordered 1
		.amdhsa_forward_progress 0
		.amdhsa_shared_vgpr_count 0
		.amdhsa_exception_fp_ieee_invalid_op 0
		.amdhsa_exception_fp_denorm_src 0
		.amdhsa_exception_fp_ieee_div_zero 0
		.amdhsa_exception_fp_ieee_overflow 0
		.amdhsa_exception_fp_ieee_underflow 0
		.amdhsa_exception_fp_ieee_inexact 0
		.amdhsa_exception_int_div_zero 0
	.end_amdhsa_kernel
	.text
.Lfunc_end3:
	.size	_Z7kernel4iiiiiiiiiiiiddPKdS0_S0_S0_S0_PdS0_S0_S0_S0_S0_S0_S0_, .Lfunc_end3-_Z7kernel4iiiiiiiiiiiiddPKdS0_S0_S0_S0_PdS0_S0_S0_S0_S0_S0_S0_
                                        ; -- End function
	.section	.AMDGPU.csdata,"",@progbits
; Kernel info:
; codeLenInByte = 11732
; NumSgprs: 30
; NumVgprs: 192
; ScratchSize: 36
; MemoryBound: 0
; FloatMode: 240
; IeeeMode: 1
; LDSByteSize: 0 bytes/workgroup (compile time only)
; SGPRBlocks: 3
; VGPRBlocks: 23
; NumSGPRsForWavesPerEU: 30
; NumVGPRsForWavesPerEU: 192
; Occupancy: 8
; WaveLimiterHint : 0
; COMPUTE_PGM_RSRC2:SCRATCH_EN: 1
; COMPUTE_PGM_RSRC2:USER_SGPR: 13
; COMPUTE_PGM_RSRC2:TRAP_HANDLER: 0
; COMPUTE_PGM_RSRC2:TGID_X_EN: 1
; COMPUTE_PGM_RSRC2:TGID_Y_EN: 1
; COMPUTE_PGM_RSRC2:TGID_Z_EN: 1
; COMPUTE_PGM_RSRC2:TIDIG_COMP_CNT: 2
	.text
	.protected	_Z7kernel5iiiiiiiiiiiiiddPKdS0_S0_S0_S0_PdS0_S0_S0_S0_S0_S0_S0_ ; -- Begin function _Z7kernel5iiiiiiiiiiiiiddPKdS0_S0_S0_S0_PdS0_S0_S0_S0_S0_S0_S0_
	.globl	_Z7kernel5iiiiiiiiiiiiiddPKdS0_S0_S0_S0_PdS0_S0_S0_S0_S0_S0_S0_
	.p2align	8
	.type	_Z7kernel5iiiiiiiiiiiiiddPKdS0_S0_S0_S0_PdS0_S0_S0_S0_S0_S0_S0_,@function
_Z7kernel5iiiiiiiiiiiiiddPKdS0_S0_S0_S0_PdS0_S0_S0_S0_S0_S0_S0_: ; @_Z7kernel5iiiiiiiiiiiiiddPKdS0_S0_S0_S0_PdS0_S0_S0_S0_S0_S0_S0_
; %bb.0:
	s_clause 0x1
	s_load_b256 s[16:23], s[0:1], 0x0
	s_load_b64 s[2:3], s[0:1], 0xbc
	v_and_b32_e32 v72, 0x3ff, v0
	v_bfe_u32 v1, v0, 10, 10
	v_bfe_u32 v0, v0, 20, 10
	s_waitcnt lgkmcnt(0)
	s_delay_alu instid0(VALU_DEP_3) | instskip(NEXT) | instid1(VALU_DEP_3)
	v_add_nc_u32_e32 v85, s16, v72
	v_add_nc_u32_e32 v83, s18, v1
	s_lshr_b32 s4, s2, 16
	s_and_b32 s2, s2, 0xffff
	s_and_b32 s3, s3, 0xffff
	s_mul_i32 s33, s13, s2
	s_mul_i32 s40, s14, s4
	s_mul_i32 s15, s15, s3
	v_add_nc_u32_e32 v27, s33, v85
	v_add_nc_u32_e32 v26, s40, v83
	v_add3_u32 v84, s15, s20, v0
	s_delay_alu instid0(VALU_DEP_3) | instskip(NEXT) | instid1(VALU_DEP_3)
	v_cmp_gt_i32_e32 vcc_lo, s17, v27
	v_cmp_gt_i32_e64 s2, s19, v26
	s_delay_alu instid0(VALU_DEP_3) | instskip(NEXT) | instid1(VALU_DEP_2)
	v_cmp_gt_i32_e64 s3, s21, v84
	s_and_b32 s2, vcc_lo, s2
	s_delay_alu instid0(VALU_DEP_1) | instid1(SALU_CYCLE_1)
	s_and_b32 s2, s2, s3
	s_delay_alu instid0(SALU_CYCLE_1)
	s_and_saveexec_b32 s3, s2
	s_cbranch_execz .LBB4_13
; %bb.1:
	v_subrev_nc_u32_e32 v0, s22, v27
	s_clause 0x5
	s_load_b256 s[24:31], s[0:1], 0x90
	s_load_b64 s[18:19], s[0:1], 0x80
	s_load_b128 s[12:15], s[0:1], 0x68
	s_load_b256 s[4:11], s[0:1], 0x48
	s_load_b128 s[36:39], s[0:1], 0x20
	s_load_b32 s20, s[0:1], 0x30
	v_add_nc_u32_e32 v77, -2, v27
	v_add_nc_u32_e32 v78, -1, v27
	v_add_nc_u32_e32 v79, 1, v27
	v_ashrrev_i32_e32 v1, 31, v0
	v_add_nc_u32_e32 v82, 2, v27
	s_delay_alu instid0(VALU_DEP_2) | instskip(SKIP_1) | instid1(VALU_DEP_1)
	v_lshlrev_b64 v[0:1], 3, v[0:1]
	s_waitcnt lgkmcnt(0)
	v_add_co_u32 v4, vcc_lo, s28, v0
	s_delay_alu instid0(VALU_DEP_2)
	v_add_co_ci_u32_e32 v5, vcc_lo, s29, v1, vcc_lo
	s_sub_i32 s28, s23, s22
	s_sub_i32 s3, s39, s38
	s_not_b32 s17, s28
	s_clause 0x2
	global_load_b64 v[90:91], v[4:5], off offset:16
	global_load_b128 v[0:3], v[4:5], off
	global_load_b128 v[12:15], v[4:5], off offset:-16
	v_subrev_nc_u32_e32 v4, s36, v26
	s_mul_i32 s17, s17, s36
	s_sub_i32 s36, s37, s36
	s_add_i32 s28, s28, 1
	s_add_i32 s36, s36, 1
	v_mul_lo_u32 v37, v26, s28
	s_mul_i32 s21, s36, s28
	v_ashrrev_i32_e32 v5, 31, v4
	s_mul_i32 s2, s21, s38
	v_mul_lo_u32 v29, v84, s21
	s_add_i32 s2, s2, s22
	s_add_i32 s3, s3, 1
	s_sub_i32 s2, s17, s2
	v_lshlrev_b64 v[4:5], 3, v[4:5]
	v_add_nc_u32_e32 v30, s2, v27
	v_add_nc_u32_e32 v26, -2, v26
	s_lshl_b32 s41, s39, 1
	v_add3_u32 v45, v29, v37, s2
	s_add_i32 s41, s20, s41
	v_add_nc_u32_e32 v28, v37, v30
	v_add_co_u32 v8, vcc_lo, s30, v4
	v_add_co_ci_u32_e32 v9, vcc_lo, s31, v5, vcc_lo
	s_delay_alu instid0(VALU_DEP_3)
	v_add_nc_u32_e32 v16, v28, v29
	s_clause 0x2
	global_load_b64 v[94:95], v[8:9], off offset:16
	global_load_b128 v[4:7], v[8:9], off
	global_load_b128 v[8:11], v[8:9], off offset:-16
	v_add_nc_u32_e32 v39, v45, v79
	v_ashrrev_i32_e32 v17, 31, v16
	s_mul_i32 s42, s38, 3
	s_sub_i32 s37, 0, s22
	s_sub_i32 s41, s41, s42
	v_ashrrev_i32_e32 v40, 31, v39
	v_lshlrev_b64 v[20:21], 3, v[16:17]
	s_add_i32 s41, s41, -5
	s_lshl_b32 s42, s38, 2
	s_mul_i32 s41, s41, s36
	v_lshlrev_b64 v[39:40], 3, v[39:40]
	s_delay_alu instid0(VALU_DEP_2) | instskip(SKIP_2) | instid1(SALU_CYCLE_1)
	v_add_co_u32 v16, vcc_lo, s12, v20
	v_add_co_ci_u32_e32 v17, vcc_lo, s13, v21, vcc_lo
	s_mul_i32 s12, s3, s21
	s_sub_i32 s31, s2, s12
	global_load_b64 v[16:17], v[16:17], off
	s_ashr_i32 s2, s31, 31
	s_ashr_i32 s13, s12, 31
	v_add_nc_u32_e32 v66, s31, v27
	s_lshl_b32 s29, s12, 1
	s_mul_i32 s34, s12, 3
	s_ashr_i32 s30, s29, 31
	s_ashr_i32 s35, s34, 31
	v_add_nc_u32_e32 v74, v37, v66
	s_delay_alu instid0(VALU_DEP_1) | instskip(NEXT) | instid1(VALU_DEP_1)
	v_add_nc_u32_e32 v73, v74, v29
	v_ashrrev_i32_e32 v75, 31, v73
	s_waitcnt vmcnt(0)
	scratch_store_b64 off, v[16:17], off offset:8 ; 8-byte Folded Spill
	v_div_scale_f64 v[16:17], null, v[4:5], v[4:5], 1.0
	s_delay_alu instid0(VALU_DEP_1) | instskip(SKIP_2) | instid1(VALU_DEP_1)
	v_rcp_f64_e32 v[18:19], v[16:17]
	s_waitcnt_depctr 0xfff
	v_fma_f64 v[22:23], -v[16:17], v[18:19], 1.0
	v_fma_f64 v[18:19], v[18:19], v[22:23], v[18:19]
	s_delay_alu instid0(VALU_DEP_1) | instskip(NEXT) | instid1(VALU_DEP_1)
	v_fma_f64 v[22:23], -v[16:17], v[18:19], 1.0
	v_fma_f64 v[18:19], v[18:19], v[22:23], v[18:19]
	v_div_scale_f64 v[22:23], vcc_lo, 1.0, v[4:5], 1.0
	s_delay_alu instid0(VALU_DEP_1) | instskip(NEXT) | instid1(VALU_DEP_1)
	v_mul_f64 v[24:25], v[22:23], v[18:19]
	v_fma_f64 v[16:17], -v[16:17], v[24:25], v[22:23]
	s_delay_alu instid0(VALU_DEP_1) | instskip(NEXT) | instid1(VALU_DEP_1)
	v_div_fmas_f64 v[16:17], v[16:17], v[18:19], v[24:25]
	v_div_fixup_f64 v[189:190], v[16:17], v[4:5], 1.0
	v_div_scale_f64 v[16:17], null, v[0:1], v[0:1], 1.0
	s_delay_alu instid0(VALU_DEP_1) | instskip(SKIP_2) | instid1(VALU_DEP_1)
	v_rcp_f64_e32 v[18:19], v[16:17]
	s_waitcnt_depctr 0xfff
	v_fma_f64 v[22:23], -v[16:17], v[18:19], 1.0
	v_fma_f64 v[18:19], v[18:19], v[22:23], v[18:19]
	s_delay_alu instid0(VALU_DEP_1) | instskip(NEXT) | instid1(VALU_DEP_1)
	v_fma_f64 v[22:23], -v[16:17], v[18:19], 1.0
	v_fma_f64 v[18:19], v[18:19], v[22:23], v[18:19]
	v_div_scale_f64 v[22:23], vcc_lo, 1.0, v[0:1], 1.0
	s_delay_alu instid0(VALU_DEP_1) | instskip(NEXT) | instid1(VALU_DEP_1)
	v_mul_f64 v[24:25], v[22:23], v[18:19]
	v_fma_f64 v[16:17], -v[16:17], v[24:25], v[22:23]
	s_delay_alu instid0(VALU_DEP_1) | instskip(NEXT) | instid1(VALU_DEP_1)
	v_div_fmas_f64 v[16:17], v[16:17], v[18:19], v[24:25]
	v_div_fixup_f64 v[52:53], v[16:17], v[0:1], 1.0
	v_add_nc_u32_e32 v16, v45, v77
	s_delay_alu instid0(VALU_DEP_1) | instskip(NEXT) | instid1(VALU_DEP_1)
	v_ashrrev_i32_e32 v17, 31, v16
	v_lshlrev_b64 v[16:17], 3, v[16:17]
	s_delay_alu instid0(VALU_DEP_1) | instskip(NEXT) | instid1(VALU_DEP_2)
	v_add_co_u32 v18, vcc_lo, s6, v16
	v_add_co_ci_u32_e32 v19, vcc_lo, s7, v17, vcc_lo
	v_add_co_u32 v16, vcc_lo, s8, v16
	v_add_co_ci_u32_e32 v17, vcc_lo, s9, v17, vcc_lo
	global_load_b64 v[92:93], v[18:19], off
	v_ashrrev_i32_e32 v18, 31, v27
	v_add_co_u32 v19, vcc_lo, v27, s31
	global_load_b64 v[165:166], v[16:17], off
	v_ashrrev_i32_e32 v17, 31, v37
	v_add_co_ci_u32_e32 v18, vcc_lo, s2, v18, vcc_lo
	v_add_co_u32 v19, vcc_lo, v19, v37
	v_ashrrev_i32_e32 v16, 31, v29
	s_delay_alu instid0(VALU_DEP_3) | instskip(NEXT) | instid1(VALU_DEP_3)
	v_add_co_ci_u32_e32 v17, vcc_lo, v18, v17, vcc_lo
	v_add_co_u32 v18, vcc_lo, v19, v29
	s_mov_b32 s2, 0x55555555
	s_delay_alu instid0(VALU_DEP_2) | instskip(NEXT) | instid1(VALU_DEP_2)
	v_add_co_ci_u32_e32 v17, vcc_lo, v17, v16, vcc_lo
	v_add_co_u32 v16, vcc_lo, v18, s12
	s_mov_b32 s3, 0x3fc55555
	s_delay_alu instid0(VALU_DEP_2) | instskip(SKIP_1) | instid1(VALU_DEP_2)
	v_add_co_ci_u32_e32 v17, vcc_lo, s13, v17, vcc_lo
	v_mul_f64 v[58:59], v[52:53], v[189:190]
	v_lshlrev_b64 v[16:17], 3, v[16:17]
	s_delay_alu instid0(VALU_DEP_1) | instskip(NEXT) | instid1(VALU_DEP_2)
	v_add_co_u32 v16, vcc_lo, s10, v16
	v_add_co_ci_u32_e32 v17, vcc_lo, s11, v17, vcc_lo
	global_load_b128 v[16:19], v[16:17], off offset:-16
	s_waitcnt vmcnt(1)
	v_fma_f64 v[22:23], v[92:93], 2.0, v[165:166]
	scratch_store_b64 off, v[22:23], off offset:124 ; 8-byte Folded Spill
	s_waitcnt vmcnt(0)
	v_mul_f64 v[22:23], v[22:23], v[16:17]
	s_delay_alu instid0(VALU_DEP_1) | instskip(SKIP_2) | instid1(VALU_DEP_2)
	v_mul_f64 v[31:32], v[16:17], v[22:23]
	v_add_nc_u32_e32 v22, v45, v78
	v_add_nc_u32_e32 v45, v45, v82
	v_ashrrev_i32_e32 v23, 31, v22
	s_delay_alu instid0(VALU_DEP_2) | instskip(NEXT) | instid1(VALU_DEP_2)
	v_ashrrev_i32_e32 v46, 31, v45
	v_lshlrev_b64 v[22:23], 3, v[22:23]
	s_delay_alu instid0(VALU_DEP_2) | instskip(NEXT) | instid1(VALU_DEP_2)
	v_lshlrev_b64 v[45:46], 3, v[45:46]
	v_add_co_u32 v24, vcc_lo, s6, v22
	s_delay_alu instid0(VALU_DEP_3)
	v_add_co_ci_u32_e32 v25, vcc_lo, s7, v23, vcc_lo
	v_add_co_u32 v22, vcc_lo, s8, v22
	v_add_co_ci_u32_e32 v23, vcc_lo, s9, v23, vcc_lo
	global_load_b64 v[104:105], v[24:25], off
	global_load_b64 v[22:23], v[22:23], off
	s_waitcnt vmcnt(0)
	scratch_store_b64 off, v[22:23], off offset:164 ; 8-byte Folded Spill
	v_fma_f64 v[22:23], v[104:105], 2.0, v[22:23]
	scratch_store_b64 off, v[22:23], off offset:180 ; 8-byte Folded Spill
	v_mul_f64 v[22:23], v[22:23], v[18:19]
	s_delay_alu instid0(VALU_DEP_1)
	v_mul_f64 v[33:34], v[18:19], v[22:23]
	v_add_co_u32 v22, vcc_lo, s6, v20
	v_add_co_ci_u32_e32 v23, vcc_lo, s7, v21, vcc_lo
	v_add_co_u32 v20, vcc_lo, s8, v20
	v_add_co_ci_u32_e32 v21, vcc_lo, s9, v21, vcc_lo
	global_load_b64 v[41:42], v[22:23], off
	global_load_b64 v[20:21], v[20:21], off
	v_mul_f64 v[35:36], v[14:15], v[33:34]
	s_waitcnt vmcnt(0)
	v_fma_f64 v[24:25], v[41:42], 2.0, v[20:21]
	v_add_nc_u32_e32 v20, s12, v73
	s_delay_alu instid0(VALU_DEP_1) | instskip(NEXT) | instid1(VALU_DEP_1)
	v_ashrrev_i32_e32 v21, 31, v20
	v_lshlrev_b64 v[56:57], 3, v[20:21]
	s_delay_alu instid0(VALU_DEP_1) | instskip(NEXT) | instid1(VALU_DEP_2)
	v_add_co_u32 v20, vcc_lo, s10, v56
	v_add_co_ci_u32_e32 v21, vcc_lo, s11, v57, vcc_lo
	v_add_co_u32 v43, vcc_lo, s6, v39
	v_add_co_ci_u32_e32 v44, vcc_lo, s7, v40, vcc_lo
	;; [unrolled: 2-line block ×3, first 2 shown]
	s_clause 0x1
	global_load_b64 v[80:81], v[20:21], off offset:16
	global_load_b128 v[20:23], v[20:21], off
	global_load_b64 v[117:118], v[43:44], off
	v_add_co_u32 v47, vcc_lo, s6, v45
	global_load_b64 v[151:152], v[39:40], off
	v_add_co_ci_u32_e32 v48, vcc_lo, s7, v46, vcc_lo
	v_add_co_u32 v45, vcc_lo, s8, v45
	v_add_co_ci_u32_e32 v46, vcc_lo, s9, v46, vcc_lo
	global_load_b64 v[109:110], v[47:48], off
	scratch_store_b64 off, v[56:57], off offset:16 ; 8-byte Folded Spill
	global_load_b64 v[45:46], v[45:46], off
	s_waitcnt vmcnt(4)
	v_mul_f64 v[24:25], v[24:25], v[20:21]
	s_waitcnt vmcnt(2)
	v_fma_f64 v[39:40], v[117:118], 2.0, v[151:152]
	s_waitcnt vmcnt(0)
	scratch_store_b64 off, v[45:46], off offset:188 ; 8-byte Folded Spill
	v_fma_f64 v[45:46], v[109:110], 2.0, v[45:46]
	v_mul_f64 v[24:25], v[20:21], v[24:25]
	scratch_store_b64 off, v[39:40], off offset:308 ; 8-byte Folded Spill
	v_mul_f64 v[39:40], v[39:40], v[22:23]
	scratch_store_b64 off, v[45:46], off offset:204 ; 8-byte Folded Spill
	v_mul_f64 v[45:46], v[45:46], v[80:81]
	v_mul_f64 v[37:38], v[0:1], v[24:25]
	;; [unrolled: 1-line block ×4, first 2 shown]
	s_delay_alu instid0(VALU_DEP_4) | instskip(NEXT) | instid1(VALU_DEP_4)
	v_mul_f64 v[45:46], v[80:81], v[45:46]
	v_fma_f64 v[47:48], v[12:13], v[31:32], v[37:38]
	v_fma_f64 v[33:34], v[14:15], v[33:34], v[37:38]
	s_delay_alu instid0(VALU_DEP_4) | instskip(NEXT) | instid1(VALU_DEP_3)
	v_mul_f64 v[43:44], v[2:3], v[39:40]
	v_fma_f64 v[47:48], 0xbfe80000, v[47:48], v[35:36]
	s_delay_alu instid0(VALU_DEP_2) | instskip(NEXT) | instid1(VALU_DEP_1)
	v_fma_f64 v[31:32], v[12:13], v[31:32], v[43:44]
	v_fma_f64 v[54:55], 0x40080000, v[33:34], v[31:32]
	;; [unrolled: 1-line block ×4, first 2 shown]
	s_delay_alu instid0(VALU_DEP_1) | instskip(SKIP_1) | instid1(VALU_DEP_1)
	v_fma_f64 v[35:36], 0x40080000, v[33:34], v[31:32]
	v_fma_f64 v[31:32], v[90:91], v[45:46], v[37:38]
	;; [unrolled: 1-line block ×3, first 2 shown]
	v_add_co_u32 v31, vcc_lo, s4, v56
	v_add_co_ci_u32_e32 v32, vcc_lo, s5, v57, vcc_lo
	s_clause 0x2
	global_load_b64 v[45:46], v[31:32], off offset:16
	global_load_b128 v[37:40], v[31:32], off
	global_load_b128 v[31:34], v[31:32], off offset:-16
	s_clause 0x3
	scratch_store_b64 off, v[109:110], off offset:196
	scratch_store_b64 off, v[117:118], off offset:268
	;; [unrolled: 1-line block ×4, first 2 shown]
	s_waitcnt vmcnt(0)
	v_add_f64 v[33:34], v[33:34], -v[37:38]
	v_add_f64 v[31:32], v[31:32], -v[37:38]
	s_delay_alu instid0(VALU_DEP_2) | instskip(NEXT) | instid1(VALU_DEP_1)
	v_mul_f64 v[33:34], v[54:55], v[33:34]
	v_fma_f64 v[31:32], v[47:48], v[31:32], v[33:34]
	v_add_f64 v[33:34], v[39:40], -v[37:38]
	s_delay_alu instid0(VALU_DEP_1) | instskip(SKIP_1) | instid1(VALU_DEP_1)
	v_fma_f64 v[31:32], v[35:36], v[33:34], v[31:32]
	v_add_f64 v[33:34], v[45:46], -v[37:38]
	v_fma_f64 v[31:32], v[43:44], v[33:34], v[31:32]
	v_mul_lo_u32 v33, v26, s28
	s_delay_alu instid0(VALU_DEP_1) | instskip(SKIP_3) | instid1(VALU_DEP_4)
	v_add_nc_u32_e32 v71, v29, v33
	v_add3_u32 v106, v33, v66, v29
	v_add_nc_u32_e32 v35, s28, v33
	v_mul_f64 v[33:34], v[41:42], v[20:21]
	v_add_nc_u32_e32 v26, v71, v30
	s_delay_alu instid0(VALU_DEP_3) | instskip(SKIP_2) | instid1(VALU_DEP_4)
	v_add_nc_u32_e32 v49, v29, v35
	v_add3_u32 v107, v35, v66, v29
	v_lshl_add_u32 v35, s28, 1, v35
	v_ashrrev_i32_e32 v27, 31, v26
	s_delay_alu instid0(VALU_DEP_2) | instskip(NEXT) | instid1(VALU_DEP_2)
	v_add_nc_u32_e32 v70, v29, v35
	v_lshlrev_b64 v[26:27], 3, v[26:27]
	v_add3_u32 v108, v35, v66, v29
	v_add_nc_u32_e32 v35, s28, v35
	s_delay_alu instid0(VALU_DEP_1) | instskip(SKIP_1) | instid1(VALU_DEP_1)
	v_add_nc_u32_e32 v76, v29, v35
	v_add3_u32 v153, v35, v66, v29
	v_add_nc_u32_e32 v29, s12, v153
	v_mul_f64 v[31:32], v[31:32], s[2:3]
	v_mul_f64 v[41:42], v[20:21], v[33:34]
	v_add_nc_u32_e32 v20, v70, v30
	s_delay_alu instid0(VALU_DEP_1) | instskip(NEXT) | instid1(VALU_DEP_1)
	v_ashrrev_i32_e32 v21, 31, v20
	v_lshlrev_b64 v[47:48], 3, v[20:21]
	v_fma_f64 v[39:40], v[189:190], v[31:32], 0
	v_add_co_u32 v31, vcc_lo, s6, v26
	v_add_co_ci_u32_e32 v32, vcc_lo, s7, v27, vcc_lo
	global_load_b64 v[98:99], v[31:32], off
	v_add_nc_u32_e32 v31, s12, v106
	v_mul_f64 v[62:63], v[4:5], v[41:42]
	s_delay_alu instid0(VALU_DEP_2) | instskip(NEXT) | instid1(VALU_DEP_1)
	v_ashrrev_i32_e32 v32, 31, v31
	v_lshlrev_b64 v[43:44], 3, v[31:32]
	s_delay_alu instid0(VALU_DEP_1) | instskip(NEXT) | instid1(VALU_DEP_2)
	v_add_co_u32 v31, vcc_lo, s10, v43
	v_add_co_ci_u32_e32 v32, vcc_lo, s11, v44, vcc_lo
	global_load_b64 v[60:61], v[31:32], off
	s_waitcnt vmcnt(0)
	v_mul_f64 v[31:32], v[98:99], v[60:61]
	s_delay_alu instid0(VALU_DEP_1) | instskip(SKIP_1) | instid1(VALU_DEP_1)
	v_mul_f64 v[111:112], v[60:61], v[31:32]
	v_add_nc_u32_e32 v31, v49, v30
	v_ashrrev_i32_e32 v32, 31, v31
	s_delay_alu instid0(VALU_DEP_1) | instskip(NEXT) | instid1(VALU_DEP_1)
	v_lshlrev_b64 v[45:46], 3, v[31:32]
	v_add_co_u32 v31, vcc_lo, s6, v45
	s_delay_alu instid0(VALU_DEP_2) | instskip(SKIP_2) | instid1(VALU_DEP_1)
	v_add_co_ci_u32_e32 v32, vcc_lo, s7, v46, vcc_lo
	global_load_b64 v[100:101], v[31:32], off
	v_add_nc_u32_e32 v31, s12, v107
	v_ashrrev_i32_e32 v32, 31, v31
	s_delay_alu instid0(VALU_DEP_1) | instskip(NEXT) | instid1(VALU_DEP_1)
	v_lshlrev_b64 v[56:57], 3, v[31:32]
	v_add_co_u32 v31, vcc_lo, s10, v56
	s_delay_alu instid0(VALU_DEP_2)
	v_add_co_ci_u32_e32 v32, vcc_lo, s11, v57, vcc_lo
	v_add_co_u32 v20, vcc_lo, s6, v47
	v_add_co_ci_u32_e32 v21, vcc_lo, s7, v48, vcc_lo
	global_load_b64 v[64:65], v[31:32], off
	global_load_b64 v[96:97], v[20:21], off
	v_add_nc_u32_e32 v20, s12, v108
	s_delay_alu instid0(VALU_DEP_1) | instskip(NEXT) | instid1(VALU_DEP_1)
	v_ashrrev_i32_e32 v21, 31, v20
	v_lshlrev_b64 v[68:69], 3, v[20:21]
	s_delay_alu instid0(VALU_DEP_1) | instskip(NEXT) | instid1(VALU_DEP_2)
	v_add_co_u32 v20, vcc_lo, s10, v68
	v_add_co_ci_u32_e32 v21, vcc_lo, s11, v69, vcc_lo
	global_load_b64 v[20:21], v[20:21], off
	s_waitcnt vmcnt(2)
	v_mul_f64 v[31:32], v[100:101], v[64:65]
	s_waitcnt vmcnt(0)
	v_mul_f64 v[33:34], v[96:97], v[20:21]
	s_delay_alu instid0(VALU_DEP_2) | instskip(SKIP_4) | instid1(VALU_DEP_2)
	v_mul_f64 v[113:114], v[64:65], v[31:32]
	scratch_store_b64 off, v[111:112], off offset:220 ; 8-byte Folded Spill
	v_mul_f64 v[115:116], v[20:21], v[33:34]
	v_add_nc_u32_e32 v33, v76, v30
	v_ashrrev_i32_e32 v30, 31, v29
	v_ashrrev_i32_e32 v34, 31, v33
	s_delay_alu instid0(VALU_DEP_2) | instskip(NEXT) | instid1(VALU_DEP_2)
	v_lshlrev_b64 v[88:89], 3, v[29:30]
	v_lshlrev_b64 v[54:55], 3, v[33:34]
	v_mul_f64 v[31:32], v[10:11], v[113:114]
	v_fma_f64 v[35:36], v[10:11], v[113:114], v[62:63]
	s_delay_alu instid0(VALU_DEP_3) | instskip(NEXT) | instid1(VALU_DEP_4)
	v_add_co_u32 v33, vcc_lo, s6, v54
	v_add_co_ci_u32_e32 v34, vcc_lo, s7, v55, vcc_lo
	v_add_co_u32 v29, vcc_lo, s10, v88
	v_add_co_ci_u32_e32 v30, vcc_lo, s11, v89, vcc_lo
	global_load_b64 v[102:103], v[33:34], off
	v_add_co_u32 v43, vcc_lo, s4, v43
	global_load_b64 v[66:67], v[29:30], off
	v_add_co_ci_u32_e32 v44, vcc_lo, s5, v44, vcc_lo
	v_add_co_u32 v56, vcc_lo, s4, v56
	v_add_co_ci_u32_e32 v57, vcc_lo, s5, v57, vcc_lo
	s_clause 0x1
	global_load_b64 v[43:44], v[43:44], off
	global_load_b64 v[56:57], v[56:57], off
	v_mul_f64 v[86:87], v[6:7], v[115:116]
	scratch_store_b64 off, v[115:116], off offset:260 ; 8-byte Folded Spill
	s_waitcnt vmcnt(2)
	v_mul_f64 v[29:30], v[102:103], v[66:67]
	s_waitcnt vmcnt(1)
	v_add_f64 v[43:44], v[43:44], -v[37:38]
	s_waitcnt vmcnt(0)
	v_add_f64 v[56:57], v[56:57], -v[37:38]
	s_delay_alu instid0(VALU_DEP_3) | instskip(SKIP_4) | instid1(VALU_DEP_1)
	v_mul_f64 v[119:120], v[66:67], v[29:30]
	v_fma_f64 v[29:30], v[8:9], v[111:112], v[62:63]
	scratch_store_b64 off, v[119:120], off offset:276 ; 8-byte Folded Spill
	v_fma_f64 v[33:34], 0xbfe80000, v[29:30], v[31:32]
	v_fma_f64 v[29:30], v[8:9], v[111:112], v[86:87]
	;; [unrolled: 1-line block ×5, first 2 shown]
	s_delay_alu instid0(VALU_DEP_3) | instskip(NEXT) | instid1(VALU_DEP_2)
	v_mul_f64 v[56:57], v[35:36], v[56:57]
	v_fma_f64 v[31:32], 0x40080000, v[31:32], v[29:30]
	v_fma_f64 v[29:30], v[94:95], v[119:120], v[62:63]
	s_delay_alu instid0(VALU_DEP_3) | instskip(SKIP_2) | instid1(VALU_DEP_4)
	v_fma_f64 v[43:44], v[33:34], v[43:44], v[56:57]
	v_add_co_u32 v56, vcc_lo, s4, v68
	v_add_co_ci_u32_e32 v57, vcc_lo, s5, v69, vcc_lo
	v_fma_f64 v[29:30], 0xbfe80000, v[29:30], v[86:87]
	global_load_b64 v[56:57], v[56:57], off
	s_waitcnt vmcnt(0)
	v_add_f64 v[56:57], v[56:57], -v[37:38]
	s_delay_alu instid0(VALU_DEP_1)
	v_fma_f64 v[43:44], v[31:32], v[56:57], v[43:44]
	v_add_co_u32 v56, vcc_lo, s4, v88
	v_add_co_ci_u32_e32 v57, vcc_lo, s5, v89, vcc_lo
	global_load_b64 v[56:57], v[56:57], off
	s_waitcnt vmcnt(0)
	v_add_f64 v[37:38], v[56:57], -v[37:38]
	v_mul_f64 v[56:57], v[0:1], v[41:42]
	s_delay_alu instid0(VALU_DEP_2) | instskip(NEXT) | instid1(VALU_DEP_1)
	v_fma_f64 v[37:38], v[29:30], v[37:38], v[43:44]
	v_mul_f64 v[37:38], v[37:38], s[2:3]
	s_delay_alu instid0(VALU_DEP_1) | instskip(SKIP_1) | instid1(VALU_DEP_1)
	v_fma_f64 v[68:69], v[52:53], v[37:38], v[39:40]
	v_mul_f64 v[37:38], v[92:93], v[16:17]
	v_mul_f64 v[39:40], v[16:17], v[37:38]
	;; [unrolled: 1-line block ×3, first 2 shown]
	s_clause 0x1
	scratch_store_b64 off, v[113:114], off offset:228
	scratch_store_b64 off, v[39:40], off offset:236
	v_mul_f64 v[88:89], v[18:19], v[37:38]
	v_mul_f64 v[37:38], v[117:118], v[22:23]
	s_delay_alu instid0(VALU_DEP_2) | instskip(NEXT) | instid1(VALU_DEP_2)
	v_mul_f64 v[43:44], v[14:15], v[88:89]
	v_mul_f64 v[86:87], v[22:23], v[37:38]
	;; [unrolled: 1-line block ×3, first 2 shown]
	scratch_store_b64 off, v[92:93], off offset:116 ; 8-byte Folded Spill
	v_fma_f64 v[41:42], v[14:15], v[88:89], v[56:57]
	s_clause 0x1
	scratch_store_b64 off, v[88:89], off offset:100
	scratch_store_b64 off, v[86:87], off offset:92
	v_mul_f64 v[62:63], v[2:3], v[86:87]
	v_mul_f64 v[92:93], v[80:81], v[37:38]
	v_fma_f64 v[37:38], v[12:13], v[39:40], v[56:57]
	s_clause 0x1
	scratch_store_b64 off, v[90:91], off offset:40
	scratch_store_b64 off, v[92:93], off offset:252
	v_fma_f64 v[39:40], v[12:13], v[39:40], v[62:63]
	v_fma_f64 v[37:38], 0xbfe80000, v[37:38], v[43:44]
	s_delay_alu instid0(VALU_DEP_2) | instskip(SKIP_2) | instid1(VALU_DEP_1)
	v_fma_f64 v[39:40], 0x40080000, v[41:42], v[39:40]
	v_fma_f64 v[41:42], v[90:91], v[92:93], v[43:44]
	;; [unrolled: 1-line block ×5, first 2 shown]
	v_add_co_u32 v56, vcc_lo, v73, s29
	v_add_co_ci_u32_e32 v57, vcc_lo, s30, v75, vcc_lo
	s_delay_alu instid0(VALU_DEP_1) | instskip(NEXT) | instid1(VALU_DEP_1)
	v_lshlrev_b64 v[56:57], 3, v[56:57]
	v_add_co_u32 v56, vcc_lo, s4, v56
	s_delay_alu instid0(VALU_DEP_2) | instskip(SKIP_3) | instid1(VALU_DEP_1)
	v_add_co_ci_u32_e32 v57, vcc_lo, s5, v57, vcc_lo
	global_load_b64 v[56:57], v[56:57], off offset:-16
	v_fma_f64 v[43:44], 0xbfe80000, v[43:44], v[62:63]
	v_add_nc_u32_e32 v62, s29, v73
	v_ashrrev_i32_e32 v63, 31, v62
	s_delay_alu instid0(VALU_DEP_1) | instskip(NEXT) | instid1(VALU_DEP_1)
	v_lshlrev_b64 v[104:105], 3, v[62:63]
	v_add_co_u32 v90, vcc_lo, s4, v104
	s_delay_alu instid0(VALU_DEP_2)
	v_add_co_ci_u32_e32 v91, vcc_lo, s5, v105, vcc_lo
	v_add_co_u32 v26, vcc_lo, s8, v26
	v_add_co_ci_u32_e32 v27, vcc_lo, s9, v27, vcc_lo
	s_clause 0x1
	global_load_b128 v[86:89], v[90:91], off offset:8
	global_load_b128 v[90:93], v[90:91], off offset:-8
	v_add_co_u32 v45, vcc_lo, s8, v45
	global_load_b64 v[26:27], v[26:27], off
	v_add_co_ci_u32_e32 v46, vcc_lo, s9, v46, vcc_lo
	v_add_co_u32 v47, vcc_lo, s8, v47
	v_add_co_ci_u32_e32 v48, vcc_lo, s9, v48, vcc_lo
	v_add_co_u32 v54, vcc_lo, s8, v54
	v_add_co_ci_u32_e32 v55, vcc_lo, s9, v55, vcc_lo
	scratch_store_b64 off, v[98:99], off offset:48 ; 8-byte Folded Spill
	s_waitcnt vmcnt(0)
	scratch_store_b64 off, v[26:27], off offset:132 ; 8-byte Folded Spill
	global_load_b64 v[45:46], v[45:46], off
	v_fma_f64 v[26:27], v[98:99], 2.0, v[26:27]
	scratch_store_b64 off, v[60:61], off offset:548 ; 8-byte Folded Spill
	v_add_f64 v[90:91], v[90:91], -v[92:93]
	v_add_f64 v[56:57], v[56:57], -v[92:93]
	;; [unrolled: 1-line block ×3, first 2 shown]
	scratch_store_b64 off, v[26:27], off offset:300 ; 8-byte Folded Spill
	v_mul_f64 v[26:27], v[60:61], v[26:27]
	v_mul_f64 v[90:91], v[39:40], v[90:91]
	scratch_store_b64 off, v[100:101], off offset:56 ; 8-byte Folded Spill
	s_waitcnt vmcnt(0)
	scratch_store_b64 off, v[45:46], off offset:140 ; 8-byte Folded Spill
	global_load_b64 v[47:48], v[47:48], off
	v_fma_f64 v[45:46], v[100:101], 2.0, v[45:46]
	scratch_store_b64 off, v[64:65], off offset:564 ; 8-byte Folded Spill
	v_fma_f64 v[56:57], v[37:38], v[56:57], v[90:91]
	v_mul_f64 v[26:27], v[60:61], v[26:27]
	scratch_store_b64 off, v[45:46], off offset:292 ; 8-byte Folded Spill
	v_mul_f64 v[45:46], v[64:65], v[45:46]
	v_fma_f64 v[56:57], v[41:42], v[86:87], v[56:57]
	v_add_f64 v[86:87], v[88:89], -v[92:93]
	v_fma_f64 v[90:91], v[8:9], v[26:27], v[24:25]
	scratch_store_b64 off, v[96:97], off offset:32 ; 8-byte Folded Spill
	s_waitcnt vmcnt(0)
	scratch_store_b64 off, v[47:48], off offset:148 ; 8-byte Folded Spill
	global_load_b64 v[54:55], v[54:55], off
	v_fma_f64 v[47:48], v[96:97], 2.0, v[47:48]
	v_fma_f64 v[56:57], v[43:44], v[86:87], v[56:57]
	scratch_store_b64 off, v[20:21], off offset:436 ; 8-byte Folded Spill
	v_mul_f64 v[45:46], v[64:65], v[45:46]
	scratch_store_b64 off, v[47:48], off offset:156 ; 8-byte Folded Spill
	v_mul_f64 v[47:48], v[20:21], v[47:48]
	v_mul_f64 v[56:57], v[56:57], s[2:3]
	scratch_store_b64 off, v[102:103], off offset:64 ; 8-byte Folded Spill
	s_waitcnt vmcnt(0)
	scratch_store_b64 off, v[54:55], off    ; 8-byte Folded Spill
	v_mul_f64 v[47:48], v[20:21], v[47:48]
	v_fma_f64 v[54:55], v[102:103], 2.0, v[54:55]
	v_fma_f64 v[86:87], v[189:190], v[56:57], 0
	v_mul_f64 v[56:57], v[10:11], v[45:46]
	v_fma_f64 v[45:46], v[10:11], v[45:46], v[24:25]
	s_clause 0x4
	scratch_store_b64 off, v[94:95], off offset:24
	scratch_store_b32 off, v106, off offset:80
	scratch_store_b32 off, v107, off offset:84
	;; [unrolled: 1-line block ×3, first 2 shown]
	scratch_store_b128 off, v[8:11], off offset:468
	v_mul_f64 v[88:89], v[6:7], v[47:48]
	scratch_store_b64 off, v[54:55], off offset:244 ; 8-byte Folded Spill
	v_mul_f64 v[54:55], v[66:67], v[54:55]
	v_fma_f64 v[47:48], v[6:7], v[47:48], v[24:25]
	v_fma_f64 v[90:91], 0xbfe80000, v[90:91], v[56:57]
	;; [unrolled: 1-line block ×3, first 2 shown]
	s_delay_alu instid0(VALU_DEP_4) | instskip(NEXT) | instid1(VALU_DEP_2)
	v_mul_f64 v[54:55], v[66:67], v[54:55]
	v_fma_f64 v[26:27], 0x40080000, v[45:46], v[26:27]
	s_delay_alu instid0(VALU_DEP_2) | instskip(SKIP_2) | instid1(VALU_DEP_1)
	v_fma_f64 v[45:46], v[94:95], v[54:55], v[56:57]
	v_fma_f64 v[24:25], v[94:95], v[54:55], v[24:25]
	v_add_nc_u32_e32 v56, s29, v106
	v_ashrrev_i32_e32 v57, 31, v56
	s_delay_alu instid0(VALU_DEP_1)
	v_lshlrev_b64 v[54:55], 3, v[56:57]
	scratch_store_b64 off, v[54:55], off offset:316 ; 8-byte Folded Spill
	v_fma_f64 v[45:46], 0x40080000, v[47:48], v[45:46]
	v_add_co_u32 v47, vcc_lo, s4, v54
	v_add_nc_u32_e32 v54, s29, v107
	v_add_co_ci_u32_e32 v48, vcc_lo, s5, v55, vcc_lo
	v_fma_f64 v[24:25], 0xbfe80000, v[24:25], v[88:89]
	s_delay_alu instid0(VALU_DEP_3) | instskip(SKIP_2) | instid1(VALU_DEP_1)
	v_ashrrev_i32_e32 v55, 31, v54
	global_load_b64 v[47:48], v[47:48], off
	v_lshlrev_b64 v[94:95], 3, v[54:55]
	v_add_co_u32 v88, vcc_lo, s4, v94
	s_delay_alu instid0(VALU_DEP_2)
	v_add_co_ci_u32_e32 v89, vcc_lo, s5, v95, vcc_lo
	global_load_b64 v[88:89], v[88:89], off
	s_waitcnt vmcnt(1)
	v_add_f64 v[47:48], v[47:48], -v[92:93]
	s_waitcnt vmcnt(0)
	v_add_f64 v[88:89], v[88:89], -v[92:93]
	s_delay_alu instid0(VALU_DEP_1) | instskip(NEXT) | instid1(VALU_DEP_1)
	v_mul_f64 v[26:27], v[88:89], v[26:27]
	v_fma_f64 v[26:27], v[47:48], v[90:91], v[26:27]
	v_add_nc_u32_e32 v47, s29, v108
	s_delay_alu instid0(VALU_DEP_1) | instskip(NEXT) | instid1(VALU_DEP_1)
	v_ashrrev_i32_e32 v48, 31, v47
	v_lshlrev_b64 v[89:90], 3, v[47:48]
	s_clause 0x1
	scratch_store_b64 off, v[94:95], off offset:324
	scratch_store_b64 off, v[89:90], off offset:212
	v_add_co_u32 v88, vcc_lo, s4, v89
	v_add_co_ci_u32_e32 v89, vcc_lo, s5, v90, vcc_lo
	global_load_b64 v[88:89], v[88:89], off
	s_waitcnt vmcnt(0)
	v_add_f64 v[88:89], v[88:89], -v[92:93]
	s_delay_alu instid0(VALU_DEP_1) | instskip(SKIP_1) | instid1(VALU_DEP_1)
	v_fma_f64 v[26:27], v[88:89], v[45:46], v[26:27]
	v_add_nc_u32_e32 v45, s29, v153
	v_ashrrev_i32_e32 v46, 31, v45
	s_delay_alu instid0(VALU_DEP_1)
	v_lshlrev_b64 v[89:90], 3, v[45:46]
	s_clause 0x1
	scratch_store_b64 off, v[66:67], off offset:508
	scratch_store_b64 off, v[89:90], off offset:284
	v_add_co_u32 v88, vcc_lo, s4, v89
	v_add_co_ci_u32_e32 v89, vcc_lo, s5, v90, vcc_lo
	global_load_b64 v[88:89], v[88:89], off
	s_waitcnt vmcnt(0)
	v_add_f64 v[88:89], v[88:89], -v[92:93]
	s_delay_alu instid0(VALU_DEP_1) | instskip(NEXT) | instid1(VALU_DEP_1)
	v_fma_f64 v[24:25], v[88:89], v[24:25], v[26:27]
	v_mul_f64 v[24:25], v[24:25], s[2:3]
	s_delay_alu instid0(VALU_DEP_1) | instskip(SKIP_2) | instid1(VALU_DEP_1)
	v_fma_f64 v[106:107], v[52:53], v[24:25], v[86:87]
	v_add_co_u32 v24, vcc_lo, v73, s34
	v_add_co_ci_u32_e32 v25, vcc_lo, s35, v75, vcc_lo
	v_lshlrev_b64 v[24:25], 3, v[24:25]
	s_delay_alu instid0(VALU_DEP_1) | instskip(NEXT) | instid1(VALU_DEP_2)
	v_add_co_u32 v24, vcc_lo, s4, v24
	v_add_co_ci_u32_e32 v25, vcc_lo, s5, v25, vcc_lo
	global_load_b64 v[90:91], v[24:25], off offset:-16
	v_add_nc_u32_e32 v24, s12, v62
	s_delay_alu instid0(VALU_DEP_1) | instskip(NEXT) | instid1(VALU_DEP_1)
	v_ashrrev_i32_e32 v25, 31, v24
	v_lshlrev_b64 v[101:102], 3, v[24:25]
	s_delay_alu instid0(VALU_DEP_1) | instskip(NEXT) | instid1(VALU_DEP_2)
	v_add_co_u32 v24, vcc_lo, s4, v101
	v_add_co_ci_u32_e32 v25, vcc_lo, s5, v102, vcc_lo
	s_clause 0x1
	global_load_b128 v[86:89], v[24:25], off offset:8
	global_load_b128 v[24:27], v[24:25], off offset:-8
	s_waitcnt vmcnt(0)
	v_add_f64 v[24:25], v[24:25], -v[26:27]
	v_add_f64 v[62:63], v[90:91], -v[26:27]
	s_delay_alu instid0(VALU_DEP_2) | instskip(NEXT) | instid1(VALU_DEP_1)
	v_mul_f64 v[24:25], v[39:40], v[24:25]
	v_fma_f64 v[24:25], v[37:38], v[62:63], v[24:25]
	v_add_f64 v[37:38], v[86:87], -v[26:27]
	s_delay_alu instid0(VALU_DEP_1) | instskip(SKIP_1) | instid1(VALU_DEP_1)
	v_fma_f64 v[24:25], v[41:42], v[37:38], v[24:25]
	v_add_f64 v[37:38], v[88:89], -v[26:27]
	v_fma_f64 v[24:25], v[43:44], v[37:38], v[24:25]
	v_add_nc_u32_e32 v37, s12, v56
	s_delay_alu instid0(VALU_DEP_1) | instskip(NEXT) | instid1(VALU_DEP_1)
	v_ashrrev_i32_e32 v38, 31, v37
	v_lshlrev_b64 v[38:39], 3, v[37:38]
	s_delay_alu instid0(VALU_DEP_1)
	v_add_co_u32 v37, vcc_lo, s4, v38
	scratch_store_b64 off, v[38:39], off offset:340 ; 8-byte Folded Spill
	v_add_co_ci_u32_e32 v38, vcc_lo, s5, v39, vcc_lo
	v_add_nc_u32_e32 v39, s12, v54
	global_load_b64 v[37:38], v[37:38], off
	v_ashrrev_i32_e32 v40, 31, v39
	s_delay_alu instid0(VALU_DEP_1) | instskip(NEXT) | instid1(VALU_DEP_1)
	v_lshlrev_b64 v[40:41], 3, v[39:40]
	v_add_co_u32 v39, vcc_lo, s4, v40
	scratch_store_b64 off, v[40:41], off offset:356 ; 8-byte Folded Spill
	v_add_co_ci_u32_e32 v40, vcc_lo, s5, v41, vcc_lo
	v_mul_f64 v[24:25], v[24:25], s[2:3]
	v_add3_u32 v41, s40, s41, v83
	s_mul_i32 s41, s39, 3
	global_load_b64 v[39:40], v[39:40], off
	s_add_i32 s41, s20, s41
	s_add_i32 s39, s20, s39
	s_sub_i32 s41, s41, s42
	s_delay_alu instid0(SALU_CYCLE_1) | instskip(NEXT) | instid1(SALU_CYCLE_1)
	s_add_i32 s41, s41, -4
	s_mul_i32 s41, s41, s36
	v_fma_f64 v[24:25], v[189:190], v[24:25], 0
	s_waitcnt vmcnt(1)
	v_add_f64 v[37:38], v[37:38], -v[26:27]
	s_waitcnt vmcnt(0)
	v_add_f64 v[39:40], v[39:40], -v[26:27]
	s_delay_alu instid0(VALU_DEP_1) | instskip(NEXT) | instid1(VALU_DEP_1)
	v_mul_f64 v[35:36], v[35:36], v[39:40]
	v_fma_f64 v[33:34], v[33:34], v[37:38], v[35:36]
	v_add_nc_u32_e32 v35, s12, v47
	s_delay_alu instid0(VALU_DEP_1) | instskip(NEXT) | instid1(VALU_DEP_1)
	v_ashrrev_i32_e32 v36, 31, v35
	v_lshlrev_b64 v[36:37], 3, v[35:36]
	s_delay_alu instid0(VALU_DEP_1)
	v_add_co_u32 v35, vcc_lo, s4, v36
	scratch_store_b64 off, v[36:37], off offset:332 ; 8-byte Folded Spill
	v_add_co_ci_u32_e32 v36, vcc_lo, s5, v37, vcc_lo
	global_load_b64 v[35:36], v[35:36], off
	s_waitcnt vmcnt(0)
	v_add_f64 v[35:36], v[35:36], -v[26:27]
	s_delay_alu instid0(VALU_DEP_1) | instskip(SKIP_1) | instid1(VALU_DEP_1)
	v_fma_f64 v[31:32], v[31:32], v[35:36], v[33:34]
	v_add_nc_u32_e32 v33, s12, v45
	v_ashrrev_i32_e32 v34, 31, v33
	s_delay_alu instid0(VALU_DEP_1) | instskip(NEXT) | instid1(VALU_DEP_1)
	v_lshlrev_b64 v[34:35], 3, v[33:34]
	v_add_co_u32 v33, vcc_lo, s4, v34
	scratch_store_b64 off, v[34:35], off offset:348 ; 8-byte Folded Spill
	v_add_co_ci_u32_e32 v34, vcc_lo, s5, v35, vcc_lo
	global_load_b64 v[33:34], v[33:34], off
	s_waitcnt vmcnt(0)
	v_add_f64 v[26:27], v[33:34], -v[26:27]
	s_delay_alu instid0(VALU_DEP_1) | instskip(NEXT) | instid1(VALU_DEP_1)
	v_fma_f64 v[26:27], v[29:30], v[26:27], v[31:32]
	v_mul_f64 v[26:27], v[26:27], s[2:3]
	s_add_i32 s2, s20, -7
	s_add_i32 s3, s20, -8
	s_delay_alu instid0(VALU_DEP_1) | instskip(SKIP_1) | instid1(VALU_DEP_1)
	v_fma_f64 v[158:159], v[52:53], v[26:27], v[24:25]
	v_add_nc_u32_e32 v24, s17, v85
	v_mad_u64_u32 v[26:27], null, v41, s28, v[24:25]
	s_delay_alu instid0(VALU_DEP_1)
	v_dual_mov_b32 v25, v26 :: v_dual_add_nc_u32 v44, s33, v26
	scratch_store_b64 off, v[25:26], off offset:364 ; 8-byte Folded Spill
	v_add3_u32 v25, s40, s41, v83
	s_lshl_b32 s41, s38, 1
	s_sub_i32 s38, s2, s38
	s_sub_i32 s39, s39, s41
	s_mul_i32 s38, s38, s36
	v_mad_u64_u32 v[26:27], null, v25, s28, v[24:25]
	s_add_i32 s39, s39, -6
	v_add3_u32 v42, s40, s38, v83
	s_mul_i32 s39, s39, s36
	s_mov_b32 s36, s2
	v_add3_u32 v43, s40, s39, v83
	s_delay_alu instid0(VALU_DEP_3) | instskip(SKIP_3) | instid1(VALU_DEP_1)
	v_mov_b32_e32 v25, v26
	v_add_nc_u32_e32 v45, s33, v26
	scratch_store_b64 off, v[25:26], off offset:372 ; 8-byte Folded Spill
	v_mad_u64_u32 v[26:27], null, v43, s28, v[24:25]
	v_dual_mov_b32 v25, v26 :: v_dual_add_nc_u32 v46, s33, v26
	scratch_store_b64 off, v[25:26], off offset:380 ; 8-byte Folded Spill
	v_mad_u64_u32 v[26:27], null, v42, s28, v[24:25]
	s_delay_alu instid0(VALU_DEP_1) | instskip(SKIP_3) | instid1(VALU_DEP_1)
	v_mov_b32_e32 v25, v26
	v_add_nc_u32_e32 v47, s33, v26
	scratch_store_b64 off, v[25:26], off offset:388 ; 8-byte Folded Spill
	v_sub_nc_u32_e32 v25, s20, v84
	v_add_nc_u32_e32 v48, 0x17a, v25
.LBB4_2:                                ; =>This Loop Header: Depth=1
                                        ;     Child Loop BB4_3 Depth 2
	s_delay_alu instid0(VALU_DEP_1) | instskip(SKIP_3) | instid1(VALU_DEP_3)
	v_dual_mov_b32 v26, 0 :: v_dual_mov_b32 v39, v48
	v_dual_mov_b32 v27, 0 :: v_dual_mov_b32 v54, v47
	v_mov_b32_e32 v57, v44
	v_dual_mov_b32 v55, v46 :: v_dual_mov_b32 v56, v45
	v_dual_mov_b32 v36, v27 :: v_dual_mov_b32 v35, v26
	;; [unrolled: 1-line block ×6, first 2 shown]
	s_mov_b32 s38, s3
.LBB4_3:                                ;   Parent Loop BB4_2 Depth=1
                                        ; =>  This Inner Loop Header: Depth=2
	v_add_nc_u32_e32 v62, s37, v54
	v_ashrrev_i32_e32 v40, 31, v39
	v_add_nc_u32_e32 v83, s37, v55
	v_add_nc_u32_e32 v85, s37, v57
	;; [unrolled: 1-line block ×3, first 2 shown]
	v_ashrrev_i32_e32 v63, 31, v62
	v_lshlrev_b64 v[89:90], 3, v[39:40]
	v_ashrrev_i32_e32 v84, 31, v83
	v_ashrrev_i32_e32 v86, 31, v85
	;; [unrolled: 1-line block ×3, first 2 shown]
	v_lshlrev_b64 v[62:63], 3, v[62:63]
	v_add_nc_u32_e32 v57, s21, v57
	v_add_co_u32 v89, vcc_lo, s24, v89
	v_add_co_ci_u32_e32 v90, vcc_lo, s25, v90, vcc_lo
	v_lshlrev_b64 v[83:84], 3, v[83:84]
	v_add_co_u32 v91, vcc_lo, s6, v62
	v_add_co_ci_u32_e32 v92, vcc_lo, s7, v63, vcc_lo
	v_lshlrev_b64 v[85:86], 3, v[85:86]
	;; [unrolled: 3-line block ×3, first 2 shown]
	v_add_co_u32 v83, vcc_lo, s10, v83
	v_add_co_ci_u32_e32 v84, vcc_lo, s11, v84, vcc_lo
	v_add_co_u32 v85, vcc_lo, s10, v85
	v_add_co_ci_u32_e32 v86, vcc_lo, s11, v86, vcc_lo
	;; [unrolled: 2-line block ×3, first 2 shown]
	global_load_b64 v[91:92], v[91:92], off
	global_load_b64 v[62:63], v[62:63], off
	s_clause 0x2
	global_load_b64 v[83:84], v[83:84], off
	global_load_b64 v[85:86], v[85:86], off
	;; [unrolled: 1-line block ×4, first 2 shown]
	v_add_nc_u32_e32 v56, s21, v56
	v_add_nc_u32_e32 v55, s21, v55
	;; [unrolled: 1-line block ×3, first 2 shown]
	v_subrev_nc_u32_e32 v39, 48, v39
	s_add_i32 s38, s38, 1
	s_delay_alu instid0(SALU_CYCLE_1)
	s_cmp_ge_i32 s38, s20
	s_waitcnt vmcnt(4)
	v_fma_f64 v[93:94], v[91:92], 2.0, v[62:63]
	s_waitcnt vmcnt(3)
	v_mul_f64 v[95:96], v[0:1], v[83:84]
	v_add_f64 v[62:63], v[91:92], v[62:63]
	s_waitcnt vmcnt(1)
	v_mul_f64 v[99:100], v[87:88], v[87:88]
	s_delay_alu instid0(VALU_DEP_4) | instskip(NEXT) | instid1(VALU_DEP_4)
	v_mul_f64 v[97:98], v[93:94], v[85:86]
	v_mul_f64 v[95:96], v[83:84], v[95:96]
	s_waitcnt vmcnt(0)
	s_delay_alu instid0(VALU_DEP_4) | instskip(NEXT) | instid1(VALU_DEP_3)
	v_mul_f64 v[62:63], v[89:90], v[62:63]
	v_mul_f64 v[97:98], v[4:5], v[97:98]
	s_delay_alu instid0(VALU_DEP_3) | instskip(NEXT) | instid1(VALU_DEP_2)
	v_fma_f64 v[99:100], v[0:1], v[95:96], v[99:100]
	v_mul_f64 v[97:98], v[85:86], v[97:98]
	s_delay_alu instid0(VALU_DEP_2) | instskip(NEXT) | instid1(VALU_DEP_1)
	v_mul_f64 v[99:100], v[91:92], v[99:100]
	v_fma_f64 v[97:98], v[4:5], v[97:98], v[99:100]
	v_mul_f64 v[99:100], v[4:5], v[85:86]
	s_delay_alu instid0(VALU_DEP_2) | instskip(NEXT) | instid1(VALU_DEP_2)
	v_fma_f64 v[35:36], v[89:90], v[97:98], v[35:36]
	v_mul_f64 v[99:100], v[85:86], v[99:100]
	s_delay_alu instid0(VALU_DEP_1) | instskip(NEXT) | instid1(VALU_DEP_1)
	v_mul_f64 v[99:100], v[4:5], v[99:100]
	v_fma_f64 v[95:96], v[0:1], v[95:96], v[99:100]
	v_fma_f64 v[99:100], v[87:88], v[87:88], v[99:100]
	s_delay_alu instid0(VALU_DEP_1) | instskip(NEXT) | instid1(VALU_DEP_3)
	v_mul_f64 v[99:100], v[91:92], v[99:100]
	v_mul_f64 v[91:92], v[91:92], v[95:96]
	;; [unrolled: 1-line block ×4, first 2 shown]
	s_delay_alu instid0(VALU_DEP_2) | instskip(NEXT) | instid1(VALU_DEP_2)
	v_mul_f64 v[95:96], v[0:1], v[95:96]
	v_fma_f64 v[91:92], v[87:88], v[93:94], v[91:92]
	s_delay_alu instid0(VALU_DEP_2) | instskip(SKIP_2) | instid1(VALU_DEP_4)
	v_mul_f64 v[95:96], v[83:84], v[95:96]
	v_mul_f64 v[83:84], v[83:84], v[62:63]
	;; [unrolled: 1-line block ×3, first 2 shown]
	v_fma_f64 v[26:27], v[89:90], v[91:92], v[26:27]
	s_delay_alu instid0(VALU_DEP_4) | instskip(NEXT) | instid1(VALU_DEP_4)
	v_fma_f64 v[95:96], v[0:1], v[95:96], v[99:100]
	v_fma_f64 v[29:30], v[85:86], v[83:84], v[29:30]
	;; [unrolled: 1-line block ×4, first 2 shown]
	s_delay_alu instid0(VALU_DEP_4)
	v_fma_f64 v[37:38], v[89:90], v[95:96], v[37:38]
	s_cbranch_scc0 .LBB4_3
; %bb.4:                                ;   in Loop: Header=BB4_2 Depth=1
	s_delay_alu instid0(VALU_DEP_4) | instskip(SKIP_1) | instid1(VALU_DEP_4)
	v_mad_u64_u32 v[39:40], null, s36, s21, v[28:29]
	v_mul_f64 v[35:36], v[58:59], v[35:36]
	v_mul_f64 v[33:34], v[52:53], v[33:34]
	s_delay_alu instid0(VALU_DEP_4)
	v_mul_f64 v[37:38], v[58:59], v[37:38]
	v_mul_f64 v[31:32], v[189:190], v[31:32]
	;; [unrolled: 1-line block ×3, first 2 shown]
	v_add_nc_u32_e32 v48, -6, v48
	v_add_nc_u32_e32 v54, s12, v39
	v_ashrrev_i32_e32 v40, 31, v39
	s_add_i32 s38, s36, 1
	s_cmp_ge_i32 s36, s20
	s_delay_alu instid0(VALU_DEP_2) | instskip(SKIP_2) | instid1(VALU_DEP_3)
	v_ashrrev_i32_e32 v55, 31, v54
	v_add_nc_u32_e32 v62, s12, v54
	v_lshlrev_b64 v[39:40], 3, v[39:40]
	v_lshlrev_b64 v[55:56], 3, v[54:55]
	s_delay_alu instid0(VALU_DEP_3) | instskip(NEXT) | instid1(VALU_DEP_1)
	v_ashrrev_i32_e32 v63, 31, v62
	v_lshlrev_b64 v[62:63], 3, v[62:63]
	s_delay_alu instid0(VALU_DEP_3) | instskip(NEXT) | instid1(VALU_DEP_4)
	v_add_co_u32 v55, vcc_lo, s4, v55
	v_add_co_ci_u32_e32 v56, vcc_lo, s5, v56, vcc_lo
	v_add_co_u32 v39, vcc_lo, s4, v39
	v_add_co_ci_u32_e32 v40, vcc_lo, s5, v40, vcc_lo
	global_load_b64 v[55:56], v[55:56], off
	v_add_co_u32 v62, vcc_lo, s4, v62
	v_add_co_ci_u32_e32 v63, vcc_lo, s5, v63, vcc_lo
	s_clause 0x1
	global_load_b64 v[62:63], v[62:63], off
	global_load_b64 v[39:40], v[39:40], off
	s_waitcnt vmcnt(2)
	v_mul_f64 v[83:84], v[29:30], v[55:56]
	v_mul_f64 v[35:36], v[35:36], v[55:56]
	v_mul_f64 v[54:55], v[33:34], v[55:56]
	s_waitcnt vmcnt(0)
	s_delay_alu instid0(VALU_DEP_3) | instskip(NEXT) | instid1(VALU_DEP_3)
	v_fma_f64 v[37:38], v[37:38], v[39:40], v[83:84]
	v_fma_f64 v[29:30], v[29:30], v[39:40], v[35:36]
	s_delay_alu instid0(VALU_DEP_3) | instskip(NEXT) | instid1(VALU_DEP_3)
	v_fma_f64 v[35:36], v[31:32], v[39:40], v[54:55]
	v_fma_f64 v[31:32], v[31:32], v[62:63], v[37:38]
	;; [unrolled: 3-line block ×3, first 2 shown]
	s_delay_alu instid0(VALU_DEP_3) | instskip(NEXT) | instid1(VALU_DEP_3)
	v_add_f64 v[68:69], v[68:69], v[31:32]
	v_add_f64 v[106:107], v[106:107], v[29:30]
	s_delay_alu instid0(VALU_DEP_3)
	v_add_f64 v[158:159], v[158:159], v[26:27]
	s_cbranch_scc1 .LBB4_6
; %bb.5:                                ;   in Loop: Header=BB4_2 Depth=1
	s_mov_b32 s36, s38
	s_branch .LBB4_2
.LBB4_6:
	v_ashrrev_i32_e32 v26, 31, v25
	s_mul_i32 s24, s21, s20
	v_add_nc_u32_e32 v164, 42, v25
	v_dual_mov_b32 v183, 0 :: v_dual_add_nc_u32 v30, s31, v77
	s_delay_alu instid0(VALU_DEP_3) | instskip(SKIP_1) | instid1(VALU_DEP_3)
	v_lshlrev_b64 v[32:33], 3, v[25:26]
	v_dual_mov_b32 v184, 0 :: v_dual_add_nc_u32 v27, s31, v78
	v_dual_mov_b32 v138, v183 :: v_dual_add_nc_u32 v31, s31, v82
	s_delay_alu instid0(VALU_DEP_4) | instskip(NEXT) | instid1(VALU_DEP_4)
	v_add_nc_u32_e32 v37, v71, v30
	v_add_co_u32 v32, vcc_lo, s26, v32
	s_delay_alu instid0(VALU_DEP_4)
	v_mov_b32_e32 v186, v184
	v_add_co_ci_u32_e32 v33, vcc_lo, s27, v33, vcc_lo
	v_dual_mov_b32 v185, v183 :: v_dual_add_nc_u32 v26, v76, v31
	v_dual_mov_b32 v188, v184 :: v_dual_add_nc_u32 v39, v71, v27
	global_load_b64 v[32:33], v[32:33], off
	v_dual_mov_b32 v88, v183 :: v_dual_add_nc_u32 v29, s31, v79
	v_dual_mov_b32 v156, v183 :: v_dual_add_nc_u32 v47, v49, v27
	s_delay_alu instid0(VALU_DEP_2)
	v_dual_mov_b32 v146, v183 :: v_dual_add_nc_u32 v45, v70, v29
	v_mov_b32_e32 v78, v183
	v_add_nc_u32_e32 v38, v71, v29
	v_add_nc_u32_e32 v40, v70, v31
	;; [unrolled: 1-line block ×4, first 2 shown]
	s_mul_i32 s2, s21, s2
	v_mov_b32_e32 v25, v164
	v_mov_b32_e32 v187, v183
	v_dual_mov_b32 v147, v184 :: v_dual_mov_b32 v162, v183
	v_mov_b32_e32 v160, v183
	v_dual_mov_b32 v154, v183 :: v_dual_mov_b32 v139, v184
	v_mov_b32_e32 v163, v184
	v_mov_b32_e32 v161, v184
	;; [unrolled: 1-line block ×6, first 2 shown]
	s_waitcnt vmcnt(0)
	scratch_store_b64 off, v[32:33], off offset:396 ; 8-byte Folded Spill
	v_add_nc_u32_e32 v32, s24, v28
	v_add_nc_u32_e32 v28, v76, v30
	s_delay_alu instid0(VALU_DEP_2) | instskip(NEXT) | instid1(VALU_DEP_1)
	v_ashrrev_i32_e32 v33, 31, v32
	v_lshlrev_b64 v[33:34], 3, v[32:33]
	v_add_nc_u32_e32 v32, s21, v32
	s_delay_alu instid0(VALU_DEP_2) | instskip(NEXT) | instid1(VALU_DEP_3)
	v_add_co_u32 v35, vcc_lo, s6, v33
	v_add_co_ci_u32_e32 v36, vcc_lo, s7, v34, vcc_lo
	v_add_co_u32 v33, vcc_lo, s8, v33
	v_add_co_ci_u32_e32 v34, vcc_lo, s9, v34, vcc_lo
	global_load_b64 v[20:21], v[35:36], off
	v_add_nc_u32_e32 v36, v71, v31
	global_load_b64 v[33:34], v[33:34], off
	s_waitcnt vmcnt(1)
	scratch_store_b64 off, v[20:21], off offset:444 ; 8-byte Folded Spill
	s_waitcnt vmcnt(0)
	scratch_store_b64 off, v[33:34], off offset:404 ; 8-byte Folded Spill
	v_add3_u32 v33, s29, s24, v74
	s_mov_b32 s24, s3
	s_delay_alu instid0(VALU_DEP_1) | instskip(NEXT) | instid1(VALU_DEP_1)
	v_ashrrev_i32_e32 v34, 31, v33
	v_lshlrev_b64 v[34:35], 3, v[33:34]
	v_add_nc_u32_e32 v33, s12, v33
	s_delay_alu instid0(VALU_DEP_2) | instskip(NEXT) | instid1(VALU_DEP_3)
	v_add_co_u32 v34, vcc_lo, s10, v34
	v_add_co_ci_u32_e32 v35, vcc_lo, s11, v35, vcc_lo
	global_load_b64 v[20:21], v[34:35], off
	v_ashrrev_i32_e32 v34, 31, v33
	s_delay_alu instid0(VALU_DEP_1) | instskip(SKIP_1) | instid1(VALU_DEP_2)
	v_lshlrev_b64 v[34:35], 3, v[33:34]
	v_add_nc_u32_e32 v33, s12, v33
	v_add_co_u32 v34, vcc_lo, s10, v34
	s_delay_alu instid0(VALU_DEP_3) | instskip(SKIP_3) | instid1(VALU_DEP_2)
	v_add_co_ci_u32_e32 v35, vcc_lo, s11, v35, vcc_lo
	global_load_b64 v[8:9], v[34:35], off
	v_ashrrev_i32_e32 v34, 31, v33
	v_add_nc_u32_e32 v35, v76, v27
	v_lshlrev_b64 v[33:34], 3, v[33:34]
	s_delay_alu instid0(VALU_DEP_1) | instskip(NEXT) | instid1(VALU_DEP_2)
	v_add_co_u32 v33, vcc_lo, s10, v33
	v_add_co_ci_u32_e32 v34, vcc_lo, s11, v34, vcc_lo
	s_waitcnt vmcnt(0)
	scratch_store_b64 off, v[8:9], off offset:484 ; 8-byte Folded Spill
	global_load_b64 v[8:9], v[33:34], off
	v_ashrrev_i32_e32 v33, 31, v32
	s_delay_alu instid0(VALU_DEP_1) | instskip(SKIP_1) | instid1(VALU_DEP_2)
	v_lshlrev_b64 v[33:34], 3, v[32:33]
	v_add_nc_u32_e32 v32, s12, v32
	v_add_co_u32 v33, vcc_lo, s4, v33
	s_delay_alu instid0(VALU_DEP_3)
	v_add_co_ci_u32_e32 v34, vcc_lo, s5, v34, vcc_lo
	global_load_b64 v[33:34], v[33:34], off
	s_waitcnt vmcnt(1)
	scratch_store_b64 off, v[8:9], off offset:492 ; 8-byte Folded Spill
	s_waitcnt vmcnt(0)
	scratch_store_b64 off, v[33:34], off offset:420 ; 8-byte Folded Spill
	v_ashrrev_i32_e32 v33, 31, v32
	s_delay_alu instid0(VALU_DEP_1) | instskip(SKIP_1) | instid1(VALU_DEP_2)
	v_lshlrev_b64 v[33:34], 3, v[32:33]
	v_add_nc_u32_e32 v32, s12, v32
	v_add_co_u32 v33, vcc_lo, s4, v33
	s_delay_alu instid0(VALU_DEP_3)
	v_add_co_ci_u32_e32 v34, vcc_lo, s5, v34, vcc_lo
	global_load_b64 v[33:34], v[33:34], off
	s_waitcnt vmcnt(0)
	scratch_store_b64 off, v[33:34], off offset:428 ; 8-byte Folded Spill
	v_ashrrev_i32_e32 v33, 31, v32
	v_add_nc_u32_e32 v34, v76, v29
	s_delay_alu instid0(VALU_DEP_2) | instskip(NEXT) | instid1(VALU_DEP_1)
	v_lshlrev_b64 v[32:33], 3, v[32:33]
	v_add_co_u32 v32, vcc_lo, s4, v32
	s_delay_alu instid0(VALU_DEP_2)
	v_add_co_ci_u32_e32 v33, vcc_lo, s5, v33, vcc_lo
	global_load_b64 v[32:33], v[32:33], off
	scratch_store_b64 off, v[20:21], off offset:452 ; 8-byte Folded Spill
	s_waitcnt vmcnt(0)
	scratch_store_b64 off, v[32:33], off offset:412 ; 8-byte Folded Spill
	v_add_nc_u32_e32 v32, s29, v26
	v_add_nc_u32_e32 v26, s12, v26
	s_delay_alu instid0(VALU_DEP_2) | instskip(NEXT) | instid1(VALU_DEP_2)
	v_ashrrev_i32_e32 v33, 31, v32
	v_ashrrev_i32_e32 v27, 31, v26
	s_delay_alu instid0(VALU_DEP_2) | instskip(NEXT) | instid1(VALU_DEP_2)
	v_lshlrev_b64 v[32:33], 3, v[32:33]
	v_lshlrev_b64 v[26:27], 3, v[26:27]
	s_delay_alu instid0(VALU_DEP_2) | instskip(NEXT) | instid1(VALU_DEP_3)
	v_add_co_u32 v32, vcc_lo, s4, v32
	v_add_co_ci_u32_e32 v33, vcc_lo, s5, v33, vcc_lo
	global_load_b64 v[64:65], v[32:33], off
	v_add_nc_u32_e32 v32, s29, v28
	s_delay_alu instid0(VALU_DEP_1) | instskip(NEXT) | instid1(VALU_DEP_1)
	v_ashrrev_i32_e32 v33, 31, v32
	v_lshlrev_b64 v[32:33], 3, v[32:33]
	s_delay_alu instid0(VALU_DEP_1) | instskip(NEXT) | instid1(VALU_DEP_2)
	v_add_co_u32 v32, vcc_lo, s4, v32
	v_add_co_ci_u32_e32 v33, vcc_lo, s5, v33, vcc_lo
	global_load_b64 v[8:9], v[32:33], off
	v_add_nc_u32_e32 v32, s29, v34
	s_delay_alu instid0(VALU_DEP_1) | instskip(NEXT) | instid1(VALU_DEP_1)
	v_ashrrev_i32_e32 v33, 31, v32
	v_lshlrev_b64 v[32:33], 3, v[32:33]
	s_delay_alu instid0(VALU_DEP_1) | instskip(NEXT) | instid1(VALU_DEP_2)
	;; [unrolled: 8-line block ×5, first 2 shown]
	v_add_co_u32 v32, vcc_lo, s4, v32
	v_add_co_ci_u32_e32 v33, vcc_lo, s5, v33, vcc_lo
	s_waitcnt vmcnt(3)
	scratch_store_b64 off, v[8:9], off offset:516 ; 8-byte Folded Spill
	global_load_b64 v[8:9], v[32:33], off
	v_add_nc_u32_e32 v32, s29, v38
	s_delay_alu instid0(VALU_DEP_1) | instskip(NEXT) | instid1(VALU_DEP_1)
	v_ashrrev_i32_e32 v33, 31, v32
	v_lshlrev_b64 v[32:33], 3, v[32:33]
	s_delay_alu instid0(VALU_DEP_1) | instskip(NEXT) | instid1(VALU_DEP_2)
	v_add_co_u32 v32, vcc_lo, s4, v32
	v_add_co_ci_u32_e32 v33, vcc_lo, s5, v33, vcc_lo
	global_load_b64 v[92:93], v[32:33], off
	v_add_nc_u32_e32 v32, s29, v39
	s_delay_alu instid0(VALU_DEP_1) | instskip(NEXT) | instid1(VALU_DEP_1)
	v_ashrrev_i32_e32 v33, 31, v32
	v_lshlrev_b64 v[32:33], 3, v[32:33]
	s_delay_alu instid0(VALU_DEP_1) | instskip(NEXT) | instid1(VALU_DEP_2)
	v_add_co_u32 v32, vcc_lo, s4, v32
	v_add_co_ci_u32_e32 v33, vcc_lo, s5, v33, vcc_lo
	;; [unrolled: 8-line block ×3, first 2 shown]
	s_waitcnt vmcnt(3)
	scratch_store_b64 off, v[10:11], off offset:500 ; 8-byte Folded Spill
	s_waitcnt vmcnt(2)
	scratch_store_b64 off, v[8:9], off offset:524 ; 8-byte Folded Spill
	global_load_b64 v[8:9], v[32:33], off
	v_add_nc_u32_e32 v32, s29, v44
	s_delay_alu instid0(VALU_DEP_1) | instskip(NEXT) | instid1(VALU_DEP_1)
	v_ashrrev_i32_e32 v33, 31, v32
	v_lshlrev_b64 v[32:33], 3, v[32:33]
	s_delay_alu instid0(VALU_DEP_1) | instskip(NEXT) | instid1(VALU_DEP_2)
	v_add_co_u32 v32, vcc_lo, s4, v32
	v_add_co_ci_u32_e32 v33, vcc_lo, s5, v33, vcc_lo
	s_waitcnt vmcnt(0)
	scratch_store_b64 off, v[8:9], off offset:532 ; 8-byte Folded Spill
	global_load_b64 v[8:9], v[32:33], off
	v_add_nc_u32_e32 v32, s29, v45
	s_delay_alu instid0(VALU_DEP_1) | instskip(NEXT) | instid1(VALU_DEP_1)
	v_ashrrev_i32_e32 v33, 31, v32
	v_lshlrev_b64 v[32:33], 3, v[32:33]
	s_delay_alu instid0(VALU_DEP_1) | instskip(NEXT) | instid1(VALU_DEP_2)
	v_add_co_u32 v32, vcc_lo, s4, v32
	v_add_co_ci_u32_e32 v33, vcc_lo, s5, v33, vcc_lo
	global_load_b64 v[112:113], v[32:33], off
	v_add_nc_u32_e32 v32, s29, v46
	s_delay_alu instid0(VALU_DEP_1) | instskip(NEXT) | instid1(VALU_DEP_1)
	v_ashrrev_i32_e32 v33, 31, v32
	v_lshlrev_b64 v[32:33], 3, v[32:33]
	s_delay_alu instid0(VALU_DEP_1) | instskip(NEXT) | instid1(VALU_DEP_2)
	v_add_co_u32 v32, vcc_lo, s4, v32
	v_add_co_ci_u32_e32 v33, vcc_lo, s5, v33, vcc_lo
	global_load_b64 v[171:172], v[32:33], off
	v_add_nc_u32_e32 v33, v49, v31
	s_delay_alu instid0(VALU_DEP_1) | instskip(NEXT) | instid1(VALU_DEP_1)
	v_add_nc_u32_e32 v31, s29, v33
	v_ashrrev_i32_e32 v32, 31, v31
	s_delay_alu instid0(VALU_DEP_1) | instskip(NEXT) | instid1(VALU_DEP_1)
	v_lshlrev_b64 v[31:32], 3, v[31:32]
	v_add_co_u32 v31, vcc_lo, s4, v31
	s_delay_alu instid0(VALU_DEP_2) | instskip(SKIP_2) | instid1(VALU_DEP_1)
	v_add_co_ci_u32_e32 v32, vcc_lo, s5, v32, vcc_lo
	global_load_b64 v[56:57], v[31:32], off
	v_add_nc_u32_e32 v32, v49, v30
	v_add_nc_u32_e32 v30, s29, v32
	s_delay_alu instid0(VALU_DEP_1) | instskip(NEXT) | instid1(VALU_DEP_1)
	v_ashrrev_i32_e32 v31, 31, v30
	v_lshlrev_b64 v[30:31], 3, v[30:31]
	s_delay_alu instid0(VALU_DEP_1) | instskip(NEXT) | instid1(VALU_DEP_2)
	v_add_co_u32 v30, vcc_lo, s4, v30
	v_add_co_ci_u32_e32 v31, vcc_lo, s5, v31, vcc_lo
	global_load_b64 v[70:71], v[30:31], off
	v_dual_mov_b32 v48, v183 :: v_dual_add_nc_u32 v31, v49, v29
	v_mov_b32_e32 v49, v184
	s_delay_alu instid0(VALU_DEP_2) | instskip(NEXT) | instid1(VALU_DEP_1)
	v_add_nc_u32_e32 v29, s29, v31
	v_ashrrev_i32_e32 v30, 31, v29
	s_delay_alu instid0(VALU_DEP_1) | instskip(NEXT) | instid1(VALU_DEP_1)
	v_lshlrev_b64 v[29:30], 3, v[29:30]
	v_add_co_u32 v29, vcc_lo, s4, v29
	s_delay_alu instid0(VALU_DEP_2) | instskip(SKIP_2) | instid1(VALU_DEP_1)
	v_add_co_ci_u32_e32 v30, vcc_lo, s5, v30, vcc_lo
	global_load_b64 v[177:178], v[29:30], off
	v_add_nc_u32_e32 v29, s29, v47
	v_ashrrev_i32_e32 v30, 31, v29
	s_delay_alu instid0(VALU_DEP_1) | instskip(NEXT) | instid1(VALU_DEP_1)
	v_lshlrev_b64 v[29:30], 3, v[29:30]
	v_add_co_u32 v29, vcc_lo, s4, v29
	s_delay_alu instid0(VALU_DEP_2)
	v_add_co_ci_u32_e32 v30, vcc_lo, s5, v30, vcc_lo
	v_add_co_u32 v26, vcc_lo, s4, v26
	v_add_co_ci_u32_e32 v27, vcc_lo, s5, v27, vcc_lo
	s_clause 0x1
	global_load_b64 v[90:91], v[29:30], off
	global_load_b64 v[26:27], v[26:27], off
	s_waitcnt vmcnt(7)
	scratch_store_b64 off, v[8:9], off offset:540 ; 8-byte Folded Spill
	s_waitcnt vmcnt(0)
	scratch_store_b64 off, v[26:27], off offset:556 ; 8-byte Folded Spill
	v_add_nc_u32_e32 v26, s12, v28
	s_delay_alu instid0(VALU_DEP_1) | instskip(NEXT) | instid1(VALU_DEP_1)
	v_ashrrev_i32_e32 v27, 31, v26
	v_lshlrev_b64 v[26:27], 3, v[26:27]
	s_delay_alu instid0(VALU_DEP_1) | instskip(NEXT) | instid1(VALU_DEP_2)
	v_add_co_u32 v26, vcc_lo, s4, v26
	v_add_co_ci_u32_e32 v27, vcc_lo, s5, v27, vcc_lo
	global_load_b64 v[26:27], v[26:27], off
	s_waitcnt vmcnt(0)
	scratch_store_b64 off, v[26:27], off offset:572 ; 8-byte Folded Spill
	v_add_nc_u32_e32 v26, s12, v34
	s_delay_alu instid0(VALU_DEP_1) | instskip(NEXT) | instid1(VALU_DEP_1)
	v_ashrrev_i32_e32 v27, 31, v26
	v_lshlrev_b64 v[26:27], 3, v[26:27]
	s_delay_alu instid0(VALU_DEP_1) | instskip(NEXT) | instid1(VALU_DEP_2)
	v_add_co_u32 v26, vcc_lo, s4, v26
	v_add_co_ci_u32_e32 v27, vcc_lo, s5, v27, vcc_lo
	global_load_b64 v[20:21], v[26:27], off
	v_add_nc_u32_e32 v26, s12, v35
	s_delay_alu instid0(VALU_DEP_1) | instskip(NEXT) | instid1(VALU_DEP_1)
	v_ashrrev_i32_e32 v27, 31, v26
	v_lshlrev_b64 v[26:27], 3, v[26:27]
	s_delay_alu instid0(VALU_DEP_1) | instskip(NEXT) | instid1(VALU_DEP_2)
	v_add_co_u32 v26, vcc_lo, s4, v26
	v_add_co_ci_u32_e32 v27, vcc_lo, s5, v27, vcc_lo
	global_load_b64 v[167:168], v[26:27], off
	;; [unrolled: 8-line block ×3, first 2 shown]
	v_add_nc_u32_e32 v26, s12, v37
	s_delay_alu instid0(VALU_DEP_1) | instskip(NEXT) | instid1(VALU_DEP_1)
	v_ashrrev_i32_e32 v27, 31, v26
	v_lshlrev_b64 v[26:27], 3, v[26:27]
	s_delay_alu instid0(VALU_DEP_1) | instskip(NEXT) | instid1(VALU_DEP_2)
	v_add_co_u32 v26, vcc_lo, s4, v26
	v_add_co_ci_u32_e32 v27, vcc_lo, s5, v27, vcc_lo
	s_waitcnt vmcnt(0)
	scratch_store_b64 off, v[10:11], off offset:580 ; 8-byte Folded Spill
	global_load_b64 v[10:11], v[26:27], off
	v_add_nc_u32_e32 v26, s12, v38
	s_delay_alu instid0(VALU_DEP_1) | instskip(NEXT) | instid1(VALU_DEP_1)
	v_ashrrev_i32_e32 v27, 31, v26
	v_lshlrev_b64 v[26:27], 3, v[26:27]
	s_delay_alu instid0(VALU_DEP_1) | instskip(NEXT) | instid1(VALU_DEP_2)
	v_add_co_u32 v26, vcc_lo, s4, v26
	v_add_co_ci_u32_e32 v27, vcc_lo, s5, v27, vcc_lo
	global_load_b64 v[50:51], v[26:27], off
	v_add_nc_u32_e32 v26, s12, v39
	s_delay_alu instid0(VALU_DEP_1) | instskip(NEXT) | instid1(VALU_DEP_1)
	v_ashrrev_i32_e32 v27, 31, v26
	v_lshlrev_b64 v[26:27], 3, v[26:27]
	s_delay_alu instid0(VALU_DEP_1) | instskip(NEXT) | instid1(VALU_DEP_2)
	v_add_co_u32 v26, vcc_lo, s4, v26
	v_add_co_ci_u32_e32 v27, vcc_lo, s5, v27, vcc_lo
	;; [unrolled: 8-line block ×3, first 2 shown]
	global_load_b64 v[26:27], v[26:27], off
	s_waitcnt vmcnt(3)
	scratch_store_b64 off, v[10:11], off offset:588 ; 8-byte Folded Spill
	s_waitcnt vmcnt(0)
	scratch_store_b64 off, v[26:27], off offset:596 ; 8-byte Folded Spill
	v_add_nc_u32_e32 v26, s12, v44
	s_delay_alu instid0(VALU_DEP_1) | instskip(NEXT) | instid1(VALU_DEP_1)
	v_ashrrev_i32_e32 v27, 31, v26
	v_lshlrev_b64 v[26:27], 3, v[26:27]
	s_delay_alu instid0(VALU_DEP_1) | instskip(NEXT) | instid1(VALU_DEP_2)
	v_add_co_u32 v26, vcc_lo, s4, v26
	v_add_co_ci_u32_e32 v27, vcc_lo, s5, v27, vcc_lo
	global_load_b64 v[26:27], v[26:27], off
	s_waitcnt vmcnt(0)
	scratch_store_b64 off, v[26:27], off offset:604 ; 8-byte Folded Spill
	v_add_nc_u32_e32 v26, s12, v45
	s_delay_alu instid0(VALU_DEP_1) | instskip(NEXT) | instid1(VALU_DEP_1)
	v_ashrrev_i32_e32 v27, 31, v26
	v_lshlrev_b64 v[26:27], 3, v[26:27]
	s_delay_alu instid0(VALU_DEP_1) | instskip(NEXT) | instid1(VALU_DEP_2)
	v_add_co_u32 v26, vcc_lo, s4, v26
	v_add_co_ci_u32_e32 v27, vcc_lo, s5, v27, vcc_lo
	global_load_b64 v[173:174], v[26:27], off
	v_add_nc_u32_e32 v26, s12, v46
	s_delay_alu instid0(VALU_DEP_1) | instskip(NEXT) | instid1(VALU_DEP_1)
	v_ashrrev_i32_e32 v27, 31, v26
	v_lshlrev_b64 v[26:27], 3, v[26:27]
	s_delay_alu instid0(VALU_DEP_1) | instskip(NEXT) | instid1(VALU_DEP_2)
	v_add_co_u32 v26, vcc_lo, s4, v26
	v_add_co_ci_u32_e32 v27, vcc_lo, s5, v27, vcc_lo
	global_load_b64 v[179:180], v[26:27], off
	;; [unrolled: 8-line block ×3, first 2 shown]
	s_waitcnt vmcnt(0)
	scratch_store_b64 off, v[26:27], off offset:612 ; 8-byte Folded Spill
	v_add_nc_u32_e32 v26, s12, v32
	s_delay_alu instid0(VALU_DEP_1) | instskip(NEXT) | instid1(VALU_DEP_1)
	v_ashrrev_i32_e32 v27, 31, v26
	v_lshlrev_b64 v[26:27], 3, v[26:27]
	s_delay_alu instid0(VALU_DEP_1) | instskip(NEXT) | instid1(VALU_DEP_2)
	v_add_co_u32 v26, vcc_lo, s4, v26
	v_add_co_ci_u32_e32 v27, vcc_lo, s5, v27, vcc_lo
	global_load_b64 v[114:115], v[26:27], off
	v_add_nc_u32_e32 v26, s12, v31
	s_delay_alu instid0(VALU_DEP_1) | instskip(NEXT) | instid1(VALU_DEP_1)
	v_ashrrev_i32_e32 v27, 31, v26
	v_lshlrev_b64 v[26:27], 3, v[26:27]
	s_delay_alu instid0(VALU_DEP_1) | instskip(NEXT) | instid1(VALU_DEP_2)
	v_add_co_u32 v26, vcc_lo, s4, v26
	v_add_co_ci_u32_e32 v27, vcc_lo, s5, v27, vcc_lo
	global_load_b64 v[66:67], v[26:27], off
	;; [unrolled: 8-line block ×3, first 2 shown]
	v_ashrrev_i32_e32 v27, 31, v74
.LBB4_7:                                ; =>This Inner Loop Header: Depth=1
	s_ashr_i32 s25, s2, 31
	v_add_co_u32 v38, vcc_lo, s2, v74
	s_delay_alu instid0(VALU_DEP_2) | instskip(SKIP_1) | instid1(VALU_DEP_3)
	v_add_co_ci_u32_e32 v39, vcc_lo, s25, v27, vcc_lo
	v_ashrrev_i32_e32 v26, 31, v25
	v_add_co_u32 v30, vcc_lo, v38, s12
	s_delay_alu instid0(VALU_DEP_3) | instskip(NEXT) | instid1(VALU_DEP_3)
	v_add_co_ci_u32_e32 v31, vcc_lo, s13, v39, vcc_lo
	v_lshlrev_b64 v[28:29], 3, v[25:26]
	v_add_nc_u32_e32 v25, -6, v25
	s_add_i32 s24, s24, 1
	s_delay_alu instid0(VALU_DEP_3) | instskip(SKIP_4) | instid1(VALU_DEP_3)
	v_lshlrev_b64 v[30:31], 3, v[30:31]
	s_add_i32 s2, s2, s21
	s_cmp_ge_i32 s24, s20
	v_add_co_u32 v28, vcc_lo, s18, v28
	v_add_co_ci_u32_e32 v29, vcc_lo, s19, v29, vcc_lo
	v_add_co_u32 v34, vcc_lo, s4, v30
	v_add_co_ci_u32_e32 v35, vcc_lo, s5, v31, vcc_lo
	global_load_b64 v[32:33], v[28:29], off
	global_load_b128 v[28:31], v[34:35], off offset:-16
	s_waitcnt vmcnt(0)
	v_fma_f64 v[78:79], -v[32:33], v[28:29], v[78:79]
	v_add_co_u32 v28, vcc_lo, v38, s29
	v_add_co_ci_u32_e32 v29, vcc_lo, s30, v39, vcc_lo
	v_fma_f64 v[146:147], -v[32:33], v[30:31], v[146:147]
	s_delay_alu instid0(VALU_DEP_2) | instskip(NEXT) | instid1(VALU_DEP_1)
	v_lshlrev_b64 v[28:29], 3, v[28:29]
	v_add_co_u32 v36, vcc_lo, s4, v28
	s_delay_alu instid0(VALU_DEP_2)
	v_add_co_ci_u32_e32 v37, vcc_lo, s5, v29, vcc_lo
	global_load_b128 v[28:31], v[36:37], off offset:-16
	s_waitcnt vmcnt(0)
	v_fma_f64 v[88:89], -v[32:33], v[28:29], v[88:89]
	v_add_co_u32 v28, vcc_lo, v38, s34
	v_add_co_ci_u32_e32 v29, vcc_lo, s35, v39, vcc_lo
	v_fma_f64 v[154:155], -v[32:33], v[30:31], v[154:155]
	s_delay_alu instid0(VALU_DEP_2) | instskip(NEXT) | instid1(VALU_DEP_1)
	v_lshlrev_b64 v[28:29], 3, v[28:29]
	v_add_co_u32 v38, vcc_lo, s4, v28
	s_delay_alu instid0(VALU_DEP_2)
	v_add_co_ci_u32_e32 v39, vcc_lo, s5, v29, vcc_lo
	global_load_b128 v[28:31], v[38:39], off offset:-16
	s_waitcnt vmcnt(0)
	v_fma_f64 v[162:163], -v[32:33], v[28:29], v[162:163]
	v_fma_f64 v[138:139], -v[32:33], v[30:31], v[138:139]
	global_load_b128 v[28:31], v[34:35], off offset:8
	s_waitcnt vmcnt(0)
	v_fma_f64 v[156:157], -v[32:33], v[30:31], v[156:157]
	v_fma_f64 v[187:188], -v[32:33], v[28:29], v[187:188]
	global_load_b128 v[28:31], v[36:37], off offset:8
	;; [unrolled: 4-line block ×3, first 2 shown]
	s_waitcnt vmcnt(0)
	v_fma_f64 v[183:184], -v[32:33], v[30:31], v[183:184]
	v_fma_f64 v[48:49], -v[32:33], v[28:29], v[48:49]
	s_cbranch_scc0 .LBB4_7
; %bb.8:
	v_add_nc_u32_e32 v27, -2, v43
	s_lshl_b32 s2, s12, 2
	v_add_nc_u32_e32 v30, -2, v42
	s_ashr_i32 s12, s2, 31
	v_add_co_u32 v25, vcc_lo, v73, s2
	v_mul_lo_u32 v34, v27, s28
	v_add_nc_u32_e32 v27, -2, v41
	v_add_co_ci_u32_e32 v26, vcc_lo, s12, v75, vcc_lo
	v_mov_b32_e32 v74, 0
	v_mov_b32_e32 v75, 0
	s_delay_alu instid0(VALU_DEP_4)
	v_mul_lo_u32 v35, v27, s28
	s_mul_i32 s12, s23, 3
	v_add_nc_u32_e32 v36, v24, v34
	s_lshl_b32 s13, s22, 2
	v_mul_lo_u32 v37, v30, s28
	s_add_i32 s17, s17, s16
	v_mov_b32_e32 v170, v75
	s_lshl_b32 s24, s23, 2
	v_add_nc_u32_e32 v39, v24, v35
	v_add_co_u32 v28, vcc_lo, s10, v104
	v_mov_b32_e32 v100, v164
	v_add_nc_u32_e32 v42, v24, v37
	s_delay_alu instid0(VALU_DEP_4) | instskip(SKIP_3) | instid1(VALU_DEP_4)
	v_subrev_nc_u32_e32 v144, s22, v39
	v_add_nc_u32_e32 v38, s12, v36
	v_add_nc_u32_e32 v43, s12, v39
	v_lshlrev_b64 v[25:26], 3, v[25:26]
	v_dual_mov_b32 v129, v144 :: v_dual_add_nc_u32 v44, s12, v42
	s_delay_alu instid0(VALU_DEP_4) | instskip(SKIP_3) | instid1(VALU_DEP_3)
	v_subrev_nc_u32_e32 v38, s13, v38
	s_mul_i32 s12, s22, 5
	v_add_co_ci_u32_e32 v29, vcc_lo, s11, v105, vcc_lo
	v_add_co_u32 v32, vcc_lo, s10, v101
	v_add_nc_u32_e32 v150, 3, v38
	v_subrev_nc_u32_e32 v38, s13, v43
	v_subrev_nc_u32_e32 v43, s13, v44
	s_lshl_b32 s13, s22, 1
	v_add_co_ci_u32_e32 v33, vcc_lo, s11, v102, vcc_lo
	s_delay_alu instid0(VALU_DEP_3) | instskip(SKIP_4) | instid1(VALU_DEP_4)
	v_add_nc_u32_e32 v110, 3, v38
	v_add3_u32 v38, s17, s23, v72
	v_mov_b32_e32 v131, v75
	v_add_co_u32 v40, vcc_lo, s10, v25
	v_add_co_ci_u32_e32 v41, vcc_lo, s11, v26, vcc_lo
	v_add_nc_u32_e32 v37, v38, v37
	v_add_nc_u32_e32 v35, v38, v35
	v_dual_mov_b32 v137, v75 :: v_dual_add_nc_u32 v34, v38, v34
	v_mov_b32_e32 v169, v74
	s_delay_alu instid0(VALU_DEP_4) | instskip(NEXT) | instid1(VALU_DEP_4)
	v_subrev_nc_u32_e32 v37, s13, v37
	v_subrev_nc_u32_e32 v35, s13, v35
	s_delay_alu instid0(VALU_DEP_4)
	v_subrev_nc_u32_e32 v34, s13, v34
	v_mov_b32_e32 v130, v74
	s_clause 0x1
	scratch_store_b64 off, v[104:105], off offset:72
	scratch_store_b64 off, v[101:102], off offset:108
	v_add_nc_u32_e32 v82, 1, v37
	v_add_nc_u32_e32 v142, 1, v35
	v_add_nc_u32_e32 v84, 1, v34
	v_mov_b32_e32 v136, v74
	s_clause 0x1
	global_load_b128 v[24:27], v[28:29], off offset:8
	global_load_b128 v[28:31], v[28:29], off offset:-16
	v_mov_b32_e32 v141, v82
	v_dual_mov_b32 v62, v74 :: v_dual_add_nc_u32 v45, s24, v36
	v_mov_b32_e32 v63, v75
	v_mov_b32_e32 v83, v142
	;; [unrolled: 1-line block ×3, first 2 shown]
	s_delay_alu instid0(VALU_DEP_4)
	v_subrev_nc_u32_e32 v44, s12, v45
	v_add_nc_u32_e32 v45, s24, v39
	v_subrev_nc_u32_e32 v128, s22, v42
	v_subrev_nc_u32_e32 v140, s22, v36
	v_dual_mov_b32 v125, v75 :: v_dual_mov_b32 v124, v74
	v_add_nc_u32_e32 v181, 4, v44
	v_add_nc_u32_e32 v148, 3, v43
	v_subrev_nc_u32_e32 v43, s12, v45
	v_mov_b32_e32 v143, v128
	v_mov_b32_e32 v145, v140
	v_dual_mov_b32 v121, v181 :: v_dual_add_nc_u32 v44, s24, v42
	v_mov_b32_e32 v111, v148
	v_mov_b32_e32 v191, v150
	v_dual_mov_b32 v127, v75 :: v_dual_mov_b32 v126, v74
	s_delay_alu instid0(VALU_DEP_4) | instskip(SKIP_2) | instid1(VALU_DEP_3)
	v_subrev_nc_u32_e32 v38, s12, v44
	v_dual_mov_b32 v97, v75 :: v_dual_mov_b32 v96, v74
	v_dual_mov_b32 v123, v75 :: v_dual_mov_b32 v122, v74
	v_dual_mov_b32 v119, v75 :: v_dual_add_nc_u32 v116, 4, v38
	v_dual_mov_b32 v118, v74 :: v_dual_mov_b32 v133, v75
	s_delay_alu instid0(VALU_DEP_2)
	v_dual_mov_b32 v132, v74 :: v_dual_mov_b32 v85, v116
	v_dual_mov_b32 v149, v110 :: v_dual_add_nc_u32 v120, 4, v43
	s_clause 0x3
	global_load_b128 v[8:11], v[32:33], off offset:8
	global_load_b128 v[44:47], v[32:33], off offset:-16
	global_load_b128 v[32:35], v[40:41], off offset:8
	global_load_b128 v[40:43], v[40:41], off offset:-16
	v_dual_mov_b32 v72, v74 :: v_dual_mov_b32 v73, v75
	v_mov_b32_e32 v182, v120
	s_mov_b32 s12, s3
.LBB4_9:                                ; =>This Inner Loop Header: Depth=1
	v_ashrrev_i32_e32 v101, 31, v100
	s_add_i32 s12, s12, 1
	s_delay_alu instid0(SALU_CYCLE_1) | instskip(NEXT) | instid1(VALU_DEP_1)
	s_cmp_ge_i32 s12, s20
	v_lshlrev_b64 v[54:55], 3, v[100:101]
	v_add_nc_u32_e32 v100, -6, v100
	s_delay_alu instid0(VALU_DEP_2) | instskip(NEXT) | instid1(VALU_DEP_3)
	v_add_co_u32 v54, vcc_lo, s18, v54
	v_add_co_ci_u32_e32 v55, vcc_lo, s19, v55, vcc_lo
	global_load_b64 v[175:176], v[54:55], off
	v_add_nc_u32_e32 v54, s33, v143
	v_add_nc_u32_e32 v143, s21, v143
	s_delay_alu instid0(VALU_DEP_2) | instskip(NEXT) | instid1(VALU_DEP_1)
	v_ashrrev_i32_e32 v55, 31, v54
	v_lshlrev_b64 v[54:55], 3, v[54:55]
	s_delay_alu instid0(VALU_DEP_1) | instskip(NEXT) | instid1(VALU_DEP_2)
	v_add_co_u32 v54, vcc_lo, s4, v54
	v_add_co_ci_u32_e32 v55, vcc_lo, s5, v55, vcc_lo
	global_load_b64 v[54:55], v[54:55], off
	s_waitcnt vmcnt(0)
	v_fma_f64 v[72:73], -v[175:176], v[54:55], v[72:73]
	v_add_nc_u32_e32 v54, s33, v145
	v_add_nc_u32_e32 v145, s21, v145
	s_delay_alu instid0(VALU_DEP_2) | instskip(NEXT) | instid1(VALU_DEP_1)
	v_ashrrev_i32_e32 v55, 31, v54
	v_lshlrev_b64 v[54:55], 3, v[54:55]
	s_delay_alu instid0(VALU_DEP_1) | instskip(NEXT) | instid1(VALU_DEP_2)
	v_add_co_u32 v54, vcc_lo, s4, v54
	v_add_co_ci_u32_e32 v55, vcc_lo, s5, v55, vcc_lo
	global_load_b64 v[54:55], v[54:55], off
	s_waitcnt vmcnt(0)
	v_fma_f64 v[96:97], -v[175:176], v[54:55], v[96:97]
	;; [unrolled: 11-line block ×12, first 2 shown]
	s_cbranch_scc0 .LBB4_9
; %bb.10:
	s_clause 0x2
	scratch_load_b64 v[54:55], off, off offset:308
	scratch_load_b64 v[98:99], off, off offset:164
	;; [unrolled: 1-line block ×3, first 2 shown]
	v_dual_mov_b32 v105, v11 :: v_dual_mov_b32 v104, v10
	v_dual_mov_b32 v103, v9 :: v_dual_mov_b32 v102, v8
	scratch_load_b64 v[85:86], off, off offset:116 ; 8-byte Folded Reload
	s_mov_b32 s12, 0x55555555
	s_mov_b32 s13, 0x3fb55555
	;; [unrolled: 1-line block ×3, first 2 shown]
	v_mul_f64 v[36:37], v[151:152], v[102:103]
	s_mov_b32 s16, s12
	s_waitcnt vmcnt(3)
	v_mul_f64 v[100:101], v[54:55], v[24:25]
	scratch_load_b64 v[54:55], off, off offset:268 ; 8-byte Folded Reload
	s_waitcnt vmcnt(0)
	v_mul_f64 v[175:176], v[54:55], v[8:9]
	v_dual_mov_b32 v8, v24 :: v_dual_mov_b32 v9, v25
	v_dual_mov_b32 v10, v26 :: v_dual_mov_b32 v11, v27
	v_mul_f64 v[26:27], v[22:23], v[100:101]
	scratch_load_b64 v[100:101], off, off offset:180 ; 8-byte Folded Reload
	v_mul_f64 v[24:25], v[54:55], v[8:9]
	v_mul_f64 v[54:55], v[54:55], v[32:33]
	;; [unrolled: 1-line block ×4, first 2 shown]
	v_dual_mov_b32 v32, v167 :: v_dual_mov_b32 v33, v168
	v_mul_f64 v[24:25], v[22:23], v[24:25]
	s_clause 0x1
	scratch_store_b128 off, v[102:105], off offset:732
	scratch_store_b64 off, v[24:25], off offset:636
	v_mul_f64 v[24:25], v[22:23], v[54:55]
	scratch_store_b64 off, v[26:27], off offset:628 ; 8-byte Folded Spill
	v_mul_f64 v[26:27], v[22:23], v[36:37]
	v_mul_f64 v[36:37], v[98:99], v[46:47]
	v_mul_f64 v[54:55], v[94:95], v[46:47]
	scratch_load_b64 v[46:47], off, off offset:124 ; 8-byte Folded Reload
	scratch_store_b64 off, v[24:25], off offset:620 ; 8-byte Folded Spill
	v_mul_f64 v[24:25], v[165:166], v[44:45]
	scratch_store_b64 off, v[26:27], off offset:644 ; 8-byte Folded Spill
	v_mul_f64 v[26:27], v[22:23], v[8:9]
	v_mul_f64 v[8:9], v[22:23], v[151:152]
	;; [unrolled: 1-line block ×4, first 2 shown]
	scratch_store_b64 off, v[8:9], off offset:708 ; 8-byte Folded Spill
	v_mul_f64 v[8:9], v[16:17], v[24:25]
	scratch_store_b64 off, v[8:9], off offset:724 ; 8-byte Folded Spill
	s_waitcnt vmcnt(1)
	v_mul_f64 v[100:101], v[100:101], v[30:31]
	v_mul_f64 v[30:31], v[85:86], v[40:41]
	;; [unrolled: 1-line block ×3, first 2 shown]
	s_delay_alu instid0(VALU_DEP_3) | instskip(NEXT) | instid1(VALU_DEP_3)
	v_mul_f64 v[24:25], v[18:19], v[100:101]
	v_mul_f64 v[102:103], v[16:17], v[30:31]
	s_delay_alu instid0(VALU_DEP_3)
	v_mul_f64 v[8:9], v[16:17], v[40:41]
	v_dual_mov_b32 v30, v64 :: v_dual_mov_b32 v31, v65
	v_dual_mov_b32 v64, v70 :: v_dual_mov_b32 v65, v71
	;; [unrolled: 1-line block ×3, first 2 shown]
	scratch_store_b64 off, v[8:9], off offset:700 ; 8-byte Folded Spill
	v_mul_f64 v[8:9], v[18:19], v[36:37]
	v_mul_f64 v[36:37], v[18:19], v[151:152]
	s_waitcnt vmcnt(0)
	v_mul_f64 v[46:47], v[46:47], v[28:29]
	v_mul_f64 v[28:29], v[85:86], v[28:29]
	;; [unrolled: 1-line block ×6, first 2 shown]
	scratch_store_b64 off, v[8:9], off offset:676 ; 8-byte Folded Spill
	v_mul_f64 v[165:166], v[16:17], v[46:47]
	v_mul_f64 v[104:105], v[16:17], v[28:29]
	;; [unrolled: 1-line block ×3, first 2 shown]
	v_dual_mov_b32 v42, v173 :: v_dual_mov_b32 v43, v174
	s_delay_alu instid0(VALU_DEP_4)
	v_mul_f64 v[46:47], v[12:13], v[165:166]
	scratch_store_b64 off, v[8:9], off offset:660 ; 8-byte Folded Spill
	v_mul_f64 v[8:9], v[16:17], v[44:45]
	v_mul_f64 v[44:45], v[18:19], v[85:86]
	v_mul_f64 v[85:86], v[18:19], v[98:99]
	scratch_store_b64 off, v[8:9], off offset:684 ; 8-byte Folded Spill
	v_mul_f64 v[8:9], v[18:19], v[54:55]
	v_mul_f64 v[54:55], v[16:17], v[94:95]
	;; [unrolled: 1-line block ×4, first 2 shown]
	v_dual_mov_b32 v103, v93 :: v_dual_mov_b32 v102, v92
	v_dual_mov_b32 v92, v177 :: v_dual_mov_b32 v93, v178
	scratch_store_b64 off, v[8:9], off offset:652 ; 8-byte Folded Spill
	v_mul_f64 v[8:9], v[14:15], v[24:25]
	v_fma_f64 v[16:17], v[12:13], v[18:19], v[16:17]
	scratch_store_b64 off, v[26:27], off offset:268 ; 8-byte Folded Spill
	v_mul_f64 v[18:19], v[138:139], v[36:37]
	v_mul_f64 v[36:37], v[154:155], v[36:37]
	;; [unrolled: 1-line block ×3, first 2 shown]
	v_dual_mov_b32 v22, v58 :: v_dual_mov_b32 v23, v59
	s_clause 0x1
	scratch_store_b64 off, v[8:9], off offset:692
	scratch_store_b64 off, v[16:17], off offset:116
	v_mul_f64 v[16:17], v[146:147], v[44:45]
	v_dual_mov_b32 v44, v179 :: v_dual_mov_b32 v45, v180
	s_delay_alu instid0(VALU_DEP_2)
	v_fma_f64 v[16:17], v[14:15], v[18:19], v[16:17]
	v_mul_f64 v[18:19], v[88:89], v[104:105]
	v_dual_mov_b32 v105, v21 :: v_dual_mov_b32 v104, v20
	scratch_store_b64 off, v[16:17], off offset:124 ; 8-byte Folded Spill
	v_mul_f64 v[8:9], v[12:13], v[18:19]
	v_dual_mov_b32 v18, v134 :: v_dual_mov_b32 v19, v135
	scratch_store_b64 off, v[8:9], off offset:716 ; 8-byte Folded Spill
	v_mul_f64 v[8:9], v[14:15], v[36:37]
	scratch_store_b64 off, v[26:27], off offset:308 ; 8-byte Folded Spill
	v_add_f64 v[14:15], v[102:103], -v[22:23]
	v_add_f64 v[36:37], v[18:19], -v[80:81]
	v_dual_mov_b32 v26, v90 :: v_dual_mov_b32 v27, v91
	scratch_store_b64 off, v[8:9], off offset:668 ; 8-byte Folded Spill
	v_dual_mov_b32 v8, v50 :: v_dual_mov_b32 v9, v51
	s_clause 0x2
	scratch_load_b64 v[76:77], off, off offset:500
	scratch_load_b64 v[100:101], off, off offset:524
	;; [unrolled: 1-line block ×3, first 2 shown]
	s_waitcnt vmcnt(1)
	v_add_f64 v[12:13], v[76:77], -v[100:101]
	s_waitcnt vmcnt(0)
	v_dual_mov_b32 v95, v17 :: v_dual_mov_b32 v94, v16
	s_delay_alu instid0(VALU_DEP_2) | instskip(NEXT) | instid1(VALU_DEP_1)
	v_mul_f64 v[12:13], v[12:13], s[12:13]
	v_fma_f64 v[12:13], v[14:15], s[16:17], -v[12:13]
	v_add_f64 v[14:15], v[30:31], -v[16:17]
	v_dual_mov_b32 v16, v22 :: v_dual_mov_b32 v17, v23
	s_delay_alu instid0(VALU_DEP_2) | instskip(NEXT) | instid1(VALU_DEP_1)
	v_mul_f64 v[14:15], v[14:15], s[12:13]
	v_fma_f64 v[14:15], v[36:37], s[16:17], -v[14:15]
	scratch_load_b64 v[36:37], off, off offset:220 ; 8-byte Folded Reload
	s_waitcnt vmcnt(0)
	v_mul_f64 v[12:13], v[36:37], v[12:13]
	scratch_load_b64 v[36:37], off, off offset:276 ; 8-byte Folded Reload
	s_waitcnt vmcnt(0)
	v_fma_f64 v[12:13], v[36:37], v[14:15], -v[12:13]
	v_add_f64 v[14:15], v[92:93], -v[90:91]
	scratch_load_b64 v[90:91], off, off offset:532 ; 8-byte Folded Reload
	v_add_f64 v[36:37], v[112:113], -v[171:172]
	scratch_store_b64 off, v[12:13], off offset:164 ; 8-byte Folded Spill
	v_add_f64 v[12:13], v[56:57], -v[70:71]
	v_dual_mov_b32 v71, v57 :: v_dual_mov_b32 v70, v56
	scratch_load_b64 v[56:57], off, off offset:540 ; 8-byte Folded Reload
	v_mul_f64 v[12:13], v[12:13], s[12:13]
	s_delay_alu instid0(VALU_DEP_1) | instskip(SKIP_2) | instid1(VALU_DEP_1)
	v_fma_f64 v[12:13], v[14:15], s[16:17], -v[12:13]
	s_waitcnt vmcnt(0)
	v_add_f64 v[14:15], v[90:91], -v[56:57]
	v_mul_f64 v[14:15], v[14:15], s[12:13]
	s_delay_alu instid0(VALU_DEP_1)
	v_fma_f64 v[14:15], v[36:37], s[16:17], -v[14:15]
	scratch_load_b64 v[36:37], off, off offset:228 ; 8-byte Folded Reload
	s_waitcnt vmcnt(0)
	v_mul_f64 v[12:13], v[36:37], v[12:13]
	scratch_load_b64 v[36:37], off, off offset:260 ; 8-byte Folded Reload
	s_waitcnt vmcnt(0)
	v_fma_f64 v[12:13], v[36:37], v[14:15], -v[12:13]
	v_add_f64 v[14:15], v[20:21], -v[32:33]
	v_add_f64 v[36:37], v[8:9], -v[108:109]
	v_dual_mov_b32 v20, v102 :: v_dual_mov_b32 v21, v103
	scratch_store_b64 off, v[12:13], off offset:172 ; 8-byte Folded Spill
	s_clause 0x7
	scratch_load_b64 v[177:178], off, off offset:556
	scratch_load_b64 v[58:59], off, off offset:572
	;; [unrolled: 1-line block ×7, first 2 shown]
	scratch_load_b64 v[28:29], off, off
	s_waitcnt vmcnt(6)
	v_add_f64 v[12:13], v[177:178], -v[58:59]
	s_waitcnt vmcnt(1)
	v_dual_mov_b32 v22, v98 :: v_dual_mov_b32 v23, v99
	v_dual_mov_b32 v109, v25 :: v_dual_mov_b32 v108, v24
	s_delay_alu instid0(VALU_DEP_3) | instskip(NEXT) | instid1(VALU_DEP_1)
	v_mul_f64 v[12:13], v[12:13], s[12:13]
	v_fma_f64 v[12:13], v[14:15], s[16:17], -v[12:13]
	v_add_f64 v[14:15], v[167:168], -v[134:135]
	s_delay_alu instid0(VALU_DEP_1) | instskip(NEXT) | instid1(VALU_DEP_1)
	v_mul_f64 v[14:15], v[14:15], s[12:13]
	v_fma_f64 v[14:15], v[36:37], s[16:17], -v[14:15]
	v_mul_f64 v[36:37], v[24:25], v[175:176]
	s_delay_alu instid0(VALU_DEP_1) | instskip(SKIP_2) | instid1(VALU_DEP_3)
	v_mul_f64 v[36:37], v[24:25], v[36:37]
	v_dual_mov_b32 v25, v19 :: v_dual_mov_b32 v24, v18
	v_dual_mov_b32 v18, v112 :: v_dual_mov_b32 v19, v113
	v_mul_f64 v[14:15], v[36:37], v[14:15]
	s_waitcnt vmcnt(0)
	v_mul_f64 v[36:37], v[98:99], v[28:29]
	v_dual_mov_b32 v28, v60 :: v_dual_mov_b32 v29, v61
	s_delay_alu instid0(VALU_DEP_2) | instskip(SKIP_1) | instid1(VALU_DEP_2)
	v_mul_f64 v[36:37], v[98:99], v[36:37]
	v_add_f64 v[98:99], v[94:95], -v[100:101]
	v_fma_f64 v[12:13], v[36:37], v[12:13], -v[14:15]
	v_add_f64 v[14:15], v[173:174], -v[44:45]
	v_add_f64 v[36:37], v[66:67], -v[28:29]
	v_dual_mov_b32 v174, v31 :: v_dual_mov_b32 v173, v30
	v_dual_mov_b32 v30, v66 :: v_dual_mov_b32 v31, v67
	v_mul_f64 v[98:99], v[98:99], s[12:13]
	scratch_store_b64 off, v[12:13], off offset:180 ; 8-byte Folded Spill
	s_clause 0x6
	scratch_load_b64 v[50:51], off, off offset:596
	scratch_load_b64 v[38:39], off, off offset:604
	;; [unrolled: 1-line block ×7, first 2 shown]
	s_waitcnt vmcnt(5)
	v_add_f64 v[12:13], v[50:51], -v[38:39]
	s_delay_alu instid0(VALU_DEP_1) | instskip(NEXT) | instid1(VALU_DEP_1)
	v_mul_f64 v[12:13], v[12:13], s[12:13]
	v_fma_f64 v[12:13], v[14:15], s[16:17], -v[12:13]
	s_waitcnt vmcnt(4)
	v_add_f64 v[14:15], v[179:180], -v[114:115]
	s_delay_alu instid0(VALU_DEP_1) | instskip(NEXT) | instid1(VALU_DEP_1)
	v_mul_f64 v[14:15], v[14:15], s[12:13]
	v_fma_f64 v[14:15], v[36:37], s[16:17], -v[14:15]
	s_waitcnt vmcnt(2)
	v_mul_f64 v[36:37], v[60:61], v[165:166]
	s_delay_alu instid0(VALU_DEP_1) | instskip(NEXT) | instid1(VALU_DEP_1)
	v_mul_f64 v[36:37], v[60:61], v[36:37]
	v_mul_f64 v[14:15], v[36:37], v[14:15]
	s_waitcnt vmcnt(0)
	v_mul_f64 v[36:37], v[66:67], v[151:152]
	s_delay_alu instid0(VALU_DEP_1) | instskip(NEXT) | instid1(VALU_DEP_1)
	v_mul_f64 v[36:37], v[66:67], v[36:37]
	v_fma_f64 v[36:37], v[36:37], v[12:13], -v[14:15]
	s_clause 0x2
	scratch_load_b64 v[102:103], off, off offset:188
	scratch_load_b128 v[12:15], off, off offset:732
	scratch_load_b64 v[94:95], off, off offset:196
	s_waitcnt vmcnt(1)
	v_dual_mov_b32 v12, v14 :: v_dual_mov_b32 v13, v15
	s_waitcnt vmcnt(0)
	v_mul_f64 v[14:15], v[94:95], v[10:11]
	s_delay_alu instid0(VALU_DEP_2)
	v_mul_f64 v[100:101], v[102:103], v[12:13]
	v_mul_f64 v[111:112], v[94:95], v[12:13]
	scratch_load_b64 v[12:13], off, off offset:204 ; 8-byte Folded Reload
	v_mul_f64 v[94:95], v[94:95], v[34:35]
	s_waitcnt vmcnt(0)
	v_mul_f64 v[12:13], v[12:13], v[10:11]
	v_mul_f64 v[10:11], v[102:103], v[34:35]
	v_add_f64 v[34:35], v[173:174], -v[76:77]
	v_add_f64 v[76:77], v[90:91], -v[70:71]
	;; [unrolled: 1-line block ×5, first 2 shown]
	v_mul_f64 v[34:35], v[34:35], s[12:13]
	s_delay_alu instid0(VALU_DEP_4)
	v_fma_f64 v[90:91], v[90:91], s[16:17], -v[98:99]
	scratch_load_b64 v[98:99], off, off offset:460 ; 8-byte Folded Reload
	v_fma_f64 v[34:35], v[76:77], s[16:17], -v[34:35]
	v_mul_f64 v[54:55], v[54:55], v[90:91]
	v_add_f64 v[90:91], v[171:172], -v[26:27]
	s_waitcnt vmcnt(0)
	v_mul_f64 v[76:77], v[102:103], v[98:99]
	v_mul_f64 v[26:27], v[98:99], v[10:11]
	;; [unrolled: 1-line block ×4, first 2 shown]
	scratch_load_b64 v[10:11], off, off offset:492 ; 8-byte Folded Reload
	v_mul_f64 v[76:77], v[98:99], v[76:77]
	s_delay_alu instid0(VALU_DEP_1) | instskip(SKIP_2) | instid1(VALU_DEP_2)
	v_fma_f64 v[76:77], v[76:77], v[34:35], -v[54:55]
	v_add_f64 v[54:55], v[177:178], -v[167:168]
	v_add_f64 v[34:35], v[58:59], -v[134:135]
	v_mul_f64 v[54:55], v[54:55], s[12:13]
	s_delay_alu instid0(VALU_DEP_2) | instskip(NEXT) | instid1(VALU_DEP_2)
	v_mul_f64 v[34:35], v[34:35], s[12:13]
	v_fma_f64 v[54:55], v[56:57], s[16:17], -v[54:55]
	scratch_load_b64 v[56:57], off, off offset:236 ; 8-byte Folded Reload
	v_fma_f64 v[34:35], v[70:71], s[16:17], -v[34:35]
	v_add_f64 v[70:71], v[18:19], -v[92:93]
	s_waitcnt vmcnt(0)
	s_delay_alu instid0(VALU_DEP_2)
	v_mul_f64 v[34:35], v[56:57], v[34:35]
	scratch_load_b64 v[56:57], off, off offset:252 ; 8-byte Folded Reload
	s_waitcnt vmcnt(0)
	v_fma_f64 v[34:35], v[56:57], v[54:55], -v[34:35]
	v_add_f64 v[54:55], v[80:81], -v[16:17]
	scratch_load_b64 v[16:17], off, off offset:708 ; 8-byte Folded Reload
	v_add_f64 v[56:57], v[24:25], -v[20:21]
	v_mul_f64 v[54:55], v[54:55], s[12:13]
	s_delay_alu instid0(VALU_DEP_1) | instskip(NEXT) | instid1(VALU_DEP_3)
	v_fma_f64 v[90:91], v[90:91], s[16:17], -v[54:55]
	v_mul_f64 v[54:55], v[56:57], s[12:13]
	s_delay_alu instid0(VALU_DEP_2) | instskip(NEXT) | instid1(VALU_DEP_2)
	v_mul_f64 v[56:57], v[85:86], v[90:91]
	v_fma_f64 v[54:55], v[70:71], s[16:17], -v[54:55]
	v_add_f64 v[70:71], v[42:43], -v[30:31]
	v_add_f64 v[85:86], v[44:45], -v[28:29]
	v_mul_f64 v[30:31], v[98:99], v[100:101]
	s_delay_alu instid0(VALU_DEP_1) | instskip(NEXT) | instid1(VALU_DEP_1)
	v_mul_f64 v[30:31], v[160:161], v[30:31]
	v_mul_f64 v[30:31], v[4:5], v[30:31]
	s_waitcnt vmcnt(0)
	v_fma_f64 v[50:51], v[16:17], v[54:55], -v[56:57]
	v_add_f64 v[56:57], v[104:105], -v[8:9]
	v_add_f64 v[54:55], v[32:33], -v[40:41]
	scratch_load_b64 v[8:9], off, off offset:724 ; 8-byte Folded Reload
	v_mul_f64 v[40:41], v[10:11], v[10:11]
	v_mul_f64 v[56:57], v[56:57], s[12:13]
	;; [unrolled: 1-line block ×3, first 2 shown]
	s_delay_alu instid0(VALU_DEP_2) | instskip(SKIP_3) | instid1(VALU_DEP_1)
	v_fma_f64 v[56:57], v[70:71], s[16:17], -v[56:57]
	scratch_load_b64 v[70:71], off, off offset:100 ; 8-byte Folded Reload
	v_fma_f64 v[54:55], v[85:86], s[16:17], -v[54:55]
	s_waitcnt vmcnt(0)
	v_mul_f64 v[54:55], v[70:71], v[54:55]
	scratch_load_b64 v[70:71], off, off offset:92 ; 8-byte Folded Reload
	s_waitcnt vmcnt(0)
	v_fma_f64 v[54:55], v[70:71], v[56:57], -v[54:55]
	v_mul_f64 v[56:57], v[88:89], v[8:9]
	s_clause 0x1
	scratch_load_b64 v[8:9], off, off offset:700
	scratch_load_b64 v[70:71], off, off offset:452
	v_mul_f64 v[56:57], v[4:5], v[56:57]
	s_delay_alu instid0(VALU_DEP_1)
	v_fma_f64 v[16:17], v[78:79], v[46:47], v[56:57]
	scratch_load_b64 v[56:57], off, off offset:40 ; 8-byte Folded Reload
	s_waitcnt vmcnt(2)
	v_fma_f64 v[16:17], v[162:163], v[8:9], v[16:17]
	scratch_load_b64 v[8:9], off, off offset:716 ; 8-byte Folded Reload
	s_waitcnt vmcnt(2)
	v_mul_f64 v[38:39], v[0:1], v[70:71]
	s_delay_alu instid0(VALU_DEP_1) | instskip(SKIP_2) | instid1(VALU_DEP_2)
	v_mul_f64 v[38:39], v[70:71], v[38:39]
	s_waitcnt vmcnt(1)
	v_mul_f64 v[12:13], v[56:57], v[12:13]
	v_fma_f64 v[40:41], v[0:1], v[38:39], v[40:41]
	s_delay_alu instid0(VALU_DEP_2) | instskip(SKIP_1) | instid1(VALU_DEP_2)
	v_fma_f64 v[12:13], v[156:157], v[12:13], v[30:31]
	v_mul_f64 v[30:31], v[98:99], v[94:95]
	v_fma_f64 v[12:13], v[183:184], v[26:27], v[12:13]
	v_mul_f64 v[26:27], v[160:161], v[14:15]
	v_mul_f64 v[14:15], v[183:184], v[14:15]
	s_delay_alu instid0(VALU_DEP_4) | instskip(NEXT) | instid1(VALU_DEP_4)
	v_mul_f64 v[30:31], v[156:157], v[30:31]
	v_add_f64 v[12:13], v[12:13], -v[16:17]
	s_delay_alu instid0(VALU_DEP_2) | instskip(SKIP_2) | instid1(VALU_DEP_4)
	v_fma_f64 v[30:31], v[56:57], v[14:15], v[30:31]
	v_mul_f64 v[14:15], v[56:57], v[26:27]
	v_mul_f64 v[26:27], v[98:99], v[111:112]
	;; [unrolled: 1-line block ×3, first 2 shown]
	s_delay_alu instid0(VALU_DEP_3) | instskip(NEXT) | instid1(VALU_DEP_1)
	v_mul_f64 v[14:15], v[189:190], v[14:15]
	v_fma_f64 v[26:27], v[156:157], v[26:27], v[14:15]
	s_waitcnt vmcnt(0)
	v_mul_f64 v[14:15], v[189:190], v[8:9]
	scratch_load_b64 v[8:9], off, off offset:684 ; 8-byte Folded Reload
	s_waitcnt vmcnt(0)
	v_fma_f64 v[18:19], v[78:79], v[8:9], v[14:15]
	scratch_load_b64 v[8:9], off, off offset:676 ; 8-byte Folded Reload
	v_add_f64 v[16:17], v[26:27], -v[18:19]
	v_mul_f64 v[26:27], v[76:77], s[12:13]
	s_delay_alu instid0(VALU_DEP_2) | instskip(NEXT) | instid1(VALU_DEP_2)
	v_mul_f64 v[16:17], v[16:17], s[12:13]
	v_fma_f64 v[76:77], v[50:51], s[16:17], -v[26:27]
	v_mul_f64 v[26:27], v[34:35], s[12:13]
	s_delay_alu instid0(VALU_DEP_1)
	v_fma_f64 v[26:27], v[54:55], s[16:17], -v[26:27]
	s_waitcnt vmcnt(0)
	v_mul_f64 v[14:15], v[154:155], v[8:9]
	scratch_load_b64 v[8:9], off, off offset:692 ; 8-byte Folded Reload
	v_mul_f64 v[14:15], v[4:5], v[14:15]
	s_waitcnt vmcnt(0)
	s_delay_alu instid0(VALU_DEP_1)
	v_fma_f64 v[14:15], v[146:147], v[8:9], v[14:15]
	scratch_load_b64 v[8:9], off, off offset:660 ; 8-byte Folded Reload
	s_waitcnt vmcnt(0)
	v_fma_f64 v[24:25], v[138:139], v[8:9], v[14:15]
	scratch_load_b64 v[8:9], off, off offset:668 ; 8-byte Folded Reload
	s_waitcnt vmcnt(0)
	v_mul_f64 v[14:15], v[189:190], v[8:9]
	scratch_load_b64 v[8:9], off, off offset:652 ; 8-byte Folded Reload
	s_waitcnt vmcnt(0)
	v_fma_f64 v[28:29], v[146:147], v[8:9], v[14:15]
	s_clause 0x5
	scratch_load_b64 v[8:9], off, off offset:484
	scratch_load_b64 v[44:45], off, off offset:404
	;; [unrolled: 1-line block ×4, first 2 shown]
	scratch_load_b32 v64, off, off offset:80
	scratch_load_b32 v78, off, off offset:84
	s_waitcnt vmcnt(5)
	v_mul_f64 v[14:15], v[4:5], v[8:9]
	s_waitcnt vmcnt(3)
	v_fma_f64 v[42:43], v[20:21], 2.0, v[44:45]
	v_add_f64 v[44:45], v[20:21], v[44:45]
	v_mul_f64 v[40:41], v[20:21], v[40:41]
	s_waitcnt vmcnt(1)
	v_add_nc_u32_e32 v64, s2, v64
	s_waitcnt vmcnt(0)
	v_add_nc_u32_e32 v78, s2, v78
	s_delay_alu instid0(VALU_DEP_2) | instskip(NEXT) | instid1(VALU_DEP_2)
	v_ashrrev_i32_e32 v65, 31, v64
	v_ashrrev_i32_e32 v79, 31, v78
	s_delay_alu instid0(VALU_DEP_2) | instskip(NEXT) | instid1(VALU_DEP_2)
	v_lshlrev_b64 v[64:65], 3, v[64:65]
	v_lshlrev_b64 v[78:79], 3, v[78:79]
	v_mul_f64 v[14:15], v[8:9], v[14:15]
	v_mul_f64 v[46:47], v[42:43], v[10:11]
	s_delay_alu instid0(VALU_DEP_2) | instskip(NEXT) | instid1(VALU_DEP_1)
	v_mul_f64 v[14:15], v[4:5], v[14:15]
	v_fma_f64 v[38:39], v[0:1], v[38:39], v[14:15]
	v_fma_f64 v[14:15], v[10:11], v[10:11], v[14:15]
	s_delay_alu instid0(VALU_DEP_2) | instskip(NEXT) | instid1(VALU_DEP_2)
	v_mul_f64 v[38:39], v[20:21], v[38:39]
	v_mul_f64 v[14:15], v[20:21], v[14:15]
	s_delay_alu instid0(VALU_DEP_2) | instskip(SKIP_2) | instid1(VALU_DEP_3)
	v_fma_f64 v[38:39], v[10:11], v[46:47], v[38:39]
	v_mul_f64 v[46:47], v[42:43], v[8:9]
	v_mul_f64 v[42:43], v[42:43], v[70:71]
	;; [unrolled: 1-line block ×3, first 2 shown]
	s_delay_alu instid0(VALU_DEP_3) | instskip(NEXT) | instid1(VALU_DEP_3)
	v_mul_f64 v[46:47], v[4:5], v[46:47]
	v_mul_f64 v[42:43], v[0:1], v[42:43]
	s_delay_alu instid0(VALU_DEP_2) | instskip(NEXT) | instid1(VALU_DEP_2)
	v_mul_f64 v[46:47], v[8:9], v[46:47]
	v_mul_f64 v[42:43], v[70:71], v[42:43]
	s_delay_alu instid0(VALU_DEP_2) | instskip(NEXT) | instid1(VALU_DEP_2)
	v_fma_f64 v[40:41], v[4:5], v[46:47], v[40:41]
	v_fma_f64 v[14:15], v[0:1], v[42:43], v[14:15]
	v_mul_f64 v[42:43], v[56:57], v[44:45]
	s_delay_alu instid0(VALU_DEP_3) | instskip(NEXT) | instid1(VALU_DEP_3)
	v_mul_f64 v[40:41], v[56:57], v[40:41]
	v_mul_f64 v[14:15], v[56:57], v[14:15]
	s_delay_alu instid0(VALU_DEP_3)
	v_mul_f64 v[44:45], v[70:71], v[42:43]
	s_clause 0x1
	scratch_load_b64 v[70:71], off, off offset:428
	scratch_load_b64 v[56:57], off, off offset:420
	v_mul_f64 v[42:43], v[42:43], v[8:9]
	v_mul_f64 v[46:47], v[8:9], v[44:45]
	;; [unrolled: 1-line block ×4, first 2 shown]
	s_delay_alu instid0(VALU_DEP_4) | instskip(NEXT) | instid1(VALU_DEP_3)
	v_mul_f64 v[42:43], v[42:43], v[10:11]
	v_mul_f64 v[40:41], v[8:9], v[40:41]
	;; [unrolled: 1-line block ×3, first 2 shown]
	s_delay_alu instid0(VALU_DEP_3)
	v_mul_f64 v[42:43], v[52:53], v[42:43]
	v_mul_f64 v[44:45], v[189:190], v[44:45]
	;; [unrolled: 1-line block ×3, first 2 shown]
	s_waitcnt vmcnt(1)
	v_mul_f64 v[40:41], v[70:71], v[40:41]
	s_waitcnt vmcnt(0)
	v_mul_f64 v[14:15], v[56:57], v[14:15]
	s_delay_alu instid0(VALU_DEP_2) | instskip(NEXT) | instid1(VALU_DEP_2)
	v_fma_f64 v[40:41], v[46:47], v[56:57], v[40:41]
	v_fma_f64 v[14:15], v[46:47], v[70:71], v[14:15]
	v_mul_f64 v[46:47], v[42:43], v[70:71]
	scratch_load_b32 v70, off, off offset:88 ; 4-byte Folded Reload
	v_fma_f64 v[46:47], v[56:57], v[44:45], v[46:47]
	scratch_load_b64 v[56:57], off, off offset:412 ; 8-byte Folded Reload
	s_waitcnt vmcnt(1)
	v_add_nc_u32_e32 v70, s2, v70
	s_delay_alu instid0(VALU_DEP_1) | instskip(NEXT) | instid1(VALU_DEP_1)
	v_ashrrev_i32_e32 v71, 31, v70
	v_lshlrev_b64 v[70:71], 3, v[70:71]
	s_waitcnt vmcnt(0)
	v_fma_f64 v[14:15], v[44:45], v[56:57], v[14:15]
	scratch_load_b64 v[44:45], off, off offset:316 ; 8-byte Folded Reload
	v_fma_f64 v[40:41], v[42:43], v[56:57], v[40:41]
	scratch_load_b64 v[42:43], off, off offset:340 ; 8-byte Folded Reload
	v_fma_f64 v[38:39], v[56:57], v[38:39], v[46:47]
	s_clause 0x1
	scratch_load_b64 v[46:47], off, off offset:356
	scratch_load_b64 v[56:57], off, off offset:324
	v_add_f64 v[14:15], v[68:69], v[14:15]
	v_add_f64 v[40:41], v[106:107], v[40:41]
	s_waitcnt vmcnt(2)
	v_add_co_u32 v42, vcc_lo, s10, v42
	v_add_co_ci_u32_e32 v43, vcc_lo, s11, v43, vcc_lo
	v_add_co_u32 v44, vcc_lo, s10, v44
	v_add_co_ci_u32_e32 v45, vcc_lo, s11, v45, vcc_lo
	s_waitcnt vmcnt(1)
	v_add_co_u32 v46, vcc_lo, s10, v46
	v_add_co_ci_u32_e32 v47, vcc_lo, s11, v47, vcc_lo
	s_waitcnt vmcnt(0)
	v_add_co_u32 v56, vcc_lo, s10, v56
	v_add_co_ci_u32_e32 v57, vcc_lo, s11, v57, vcc_lo
	v_add_co_u32 v64, vcc_lo, s10, v64
	v_add_co_ci_u32_e32 v65, vcc_lo, s11, v65, vcc_lo
	;; [unrolled: 2-line block ×4, first 2 shown]
	s_clause 0x4
	global_load_b64 v[42:43], v[42:43], off
	global_load_b64 v[64:65], v[64:65], off
	;; [unrolled: 1-line block ×5, first 2 shown]
	s_clause 0x2
	scratch_load_b64 v[80:81], off, off offset:300
	scratch_load_b64 v[102:103], off, off offset:48
	scratch_load_b128 v[8:11], off, off offset:468
	s_waitcnt vmcnt(3)
	v_mul_f64 v[34:35], v[165:166], v[78:79]
	s_waitcnt vmcnt(2)
	v_mul_f64 v[80:81], v[80:81], v[42:43]
	;; [unrolled: 2-line block ×3, first 2 shown]
	v_mul_f64 v[85:86], v[102:103], v[64:65]
	s_delay_alu instid0(VALU_DEP_4) | instskip(NEXT) | instid1(VALU_DEP_4)
	v_mul_f64 v[34:35], v[60:61], v[34:35]
	v_mul_f64 v[80:81], v[108:109], v[80:81]
	s_delay_alu instid0(VALU_DEP_4) | instskip(NEXT) | instid1(VALU_DEP_4)
	v_mul_f64 v[42:43], v[108:109], v[42:43]
	;; [unrolled: 3-line block ×4, first 2 shown]
	v_mul_f64 v[85:86], v[96:97], v[85:86]
	v_mul_f64 v[42:43], v[72:73], v[42:43]
	s_waitcnt vmcnt(0)
	s_delay_alu instid0(VALU_DEP_4) | instskip(NEXT) | instid1(VALU_DEP_3)
	v_mul_f64 v[80:81], v[8:9], v[80:81]
	v_fma_f64 v[85:86], v[8:9], v[87:88], v[85:86]
	s_clause 0x1
	global_load_b64 v[46:47], v[46:47], off
	global_load_b64 v[56:57], v[56:57], off
	s_clause 0x1
	scratch_load_b64 v[87:88], off, off offset:292
	scratch_load_b64 v[104:105], off, off offset:56
	v_mul_f64 v[8:9], v[8:9], v[42:43]
	v_mul_f64 v[80:81], v[52:53], v[80:81]
	s_delay_alu instid0(VALU_DEP_2)
	v_mul_f64 v[8:9], v[52:53], v[8:9]
	s_waitcnt vmcnt(1)
	v_mul_f64 v[87:88], v[87:88], v[46:47]
	s_waitcnt vmcnt(0)
	v_mul_f64 v[46:47], v[104:105], v[46:47]
	v_mul_f64 v[89:90], v[104:105], v[78:79]
	s_delay_alu instid0(VALU_DEP_3) | instskip(NEXT) | instid1(VALU_DEP_3)
	v_mul_f64 v[87:88], v[60:61], v[87:88]
	v_mul_f64 v[46:47], v[60:61], v[46:47]
	s_delay_alu instid0(VALU_DEP_3) | instskip(NEXT) | instid1(VALU_DEP_3)
	;; [unrolled: 3-line block ×3, first 2 shown]
	v_mul_f64 v[91:92], v[130:131], v[46:47]
	v_mul_f64 v[89:90], v[126:127], v[89:90]
	;; [unrolled: 1-line block ×3, first 2 shown]
	s_delay_alu instid0(VALU_DEP_4) | instskip(SKIP_1) | instid1(VALU_DEP_4)
	v_mul_f64 v[42:43], v[10:11], v[87:88]
	v_add_nc_u32_e32 v87, s2, v153
	v_fma_f64 v[89:90], v[10:11], v[91:92], v[89:90]
	s_delay_alu instid0(VALU_DEP_4) | instskip(SKIP_3) | instid1(VALU_DEP_1)
	v_mul_f64 v[10:11], v[10:11], v[46:47]
	v_mul_f64 v[46:47], v[175:176], v[44:45]
	;; [unrolled: 1-line block ×3, first 2 shown]
	v_ashrrev_i32_e32 v88, 31, v87
	v_lshlrev_b64 v[87:88], 3, v[87:88]
	v_mul_f64 v[42:43], v[52:53], v[42:43]
	v_mul_f64 v[10:11], v[52:53], v[10:11]
	;; [unrolled: 1-line block ×4, first 2 shown]
	s_delay_alu instid0(VALU_DEP_2)
	v_fma_f64 v[46:47], v[72:73], v[46:47], v[80:81]
	s_clause 0x1
	scratch_load_b64 v[72:73], off, off offset:348
	scratch_load_b64 v[80:81], off, off offset:284
	v_fma_f64 v[8:9], v[96:97], v[44:45], v[8:9]
	v_mul_f64 v[44:45], v[165:166], v[56:57]
	s_delay_alu instid0(VALU_DEP_1) | instskip(NEXT) | instid1(VALU_DEP_1)
	v_mul_f64 v[44:45], v[60:61], v[44:45]
	v_fma_f64 v[42:43], v[132:133], v[44:45], v[42:43]
	v_mul_f64 v[44:45], v[104:105], v[56:57]
	s_delay_alu instid0(VALU_DEP_2) | instskip(NEXT) | instid1(VALU_DEP_2)
	v_fma_f64 v[34:35], v[52:53], v[34:35], v[42:43]
	v_mul_f64 v[44:45], v[60:61], v[44:45]
	s_delay_alu instid0(VALU_DEP_1)
	v_fma_f64 v[10:11], v[126:127], v[44:45], v[10:11]
	s_waitcnt vmcnt(1)
	v_add_co_u32 v72, vcc_lo, s10, v72
	v_add_co_ci_u32_e32 v73, vcc_lo, s11, v73, vcc_lo
	s_waitcnt vmcnt(0)
	v_add_co_u32 v80, vcc_lo, s10, v80
	v_add_co_ci_u32_e32 v81, vcc_lo, s11, v81, vcc_lo
	s_clause 0x1
	global_load_b64 v[72:73], v[72:73], off
	global_load_b64 v[80:81], v[80:81], off
	s_clause 0x2
	scratch_load_b64 v[91:92], off, off offset:244
	scratch_load_b64 v[100:101], off, off offset:24
	scratch_load_b64 v[58:59], off, off
	v_add_co_u32 v87, vcc_lo, s10, v87
	v_add_co_ci_u32_e32 v88, vcc_lo, s11, v88, vcc_lo
	s_waitcnt vmcnt(2)
	v_mul_f64 v[91:92], v[91:92], v[72:73]
	s_waitcnt vmcnt(0)
	v_mul_f64 v[93:94], v[58:59], v[80:81]
	s_delay_alu instid0(VALU_DEP_2) | instskip(NEXT) | instid1(VALU_DEP_2)
	v_mul_f64 v[91:92], v[22:23], v[91:92]
	v_mul_f64 v[93:94], v[22:23], v[93:94]
	s_delay_alu instid0(VALU_DEP_2) | instskip(NEXT) | instid1(VALU_DEP_1)
	v_mul_f64 v[91:92], v[62:63], v[91:92]
	v_mul_f64 v[91:92], v[100:101], v[91:92]
	s_delay_alu instid0(VALU_DEP_1) | instskip(NEXT) | instid1(VALU_DEP_1)
	v_mul_f64 v[91:92], v[52:53], v[91:92]
	v_fma_f64 v[91:92], v[122:123], v[93:94], v[91:92]
	global_load_b64 v[87:88], v[87:88], off
	s_clause 0x2
	scratch_load_b64 v[93:94], off, off offset:64
	scratch_load_b64 v[20:21], off, off offset:644
	scratch_load_b64 v[32:33], off, off offset:636
	s_waitcnt vmcnt(2)
	v_mul_f64 v[72:73], v[93:94], v[72:73]
	s_waitcnt vmcnt(1)
	v_mul_f64 v[44:45], v[185:186], v[20:21]
	scratch_load_b64 v[20:21], off, off offset:628 ; 8-byte Folded Reload
	v_mul_f64 v[80:81], v[93:94], v[80:81]
	v_mul_f64 v[93:94], v[93:94], v[87:88]
	v_mul_f64 v[72:73], v[22:23], v[72:73]
	v_mul_f64 v[44:45], v[4:5], v[44:45]
	s_delay_alu instid0(VALU_DEP_4) | instskip(NEXT) | instid1(VALU_DEP_4)
	v_mul_f64 v[80:81], v[22:23], v[80:81]
	v_mul_f64 v[93:94], v[22:23], v[93:94]
	s_delay_alu instid0(VALU_DEP_4) | instskip(SKIP_1) | instid1(VALU_DEP_3)
	v_mul_f64 v[98:99], v[122:123], v[72:73]
	v_mul_f64 v[72:73], v[74:75], v[72:73]
	;; [unrolled: 1-line block ×3, first 2 shown]
	s_delay_alu instid0(VALU_DEP_1) | instskip(NEXT) | instid1(VALU_DEP_4)
	v_fma_f64 v[72:73], v[100:101], v[72:73], v[93:94]
	v_mul_f64 v[93:94], v[100:101], v[98:99]
	s_delay_alu instid0(VALU_DEP_1) | instskip(NEXT) | instid1(VALU_DEP_1)
	v_mul_f64 v[93:94], v[52:53], v[93:94]
	v_fma_f64 v[62:63], v[62:63], v[80:81], v[93:94]
	s_delay_alu instid0(VALU_DEP_1) | instskip(NEXT) | instid1(VALU_DEP_1)
	v_add_f64 v[8:9], v[62:63], -v[8:9]
	v_mul_f64 v[8:9], v[8:9], s[12:13]
	s_waitcnt vmcnt(0)
	v_mul_f64 v[56:57], v[2:3], v[20:21]
	scratch_load_b64 v[20:21], off, off offset:308 ; 8-byte Folded Reload
	v_fma_f64 v[44:45], v[187:188], v[56:57], v[44:45]
	v_mul_f64 v[56:57], v[185:186], v[32:33]
	v_mul_f64 v[32:33], v[48:49], v[32:33]
	s_delay_alu instid0(VALU_DEP_2) | instskip(NEXT) | instid1(VALU_DEP_1)
	v_mul_f64 v[56:57], v[2:3], v[56:57]
	v_mul_f64 v[56:57], v[189:190], v[56:57]
	s_waitcnt vmcnt(0)
	s_delay_alu instid0(VALU_DEP_1)
	v_fma_f64 v[56:57], v[187:188], v[20:21], v[56:57]
	scratch_load_b64 v[20:21], off, off offset:620 ; 8-byte Folded Reload
	s_waitcnt vmcnt(0)
	v_mul_f64 v[80:81], v[187:188], v[20:21]
	scratch_load_b64 v[20:21], off, off offset:268 ; 8-byte Folded Reload
	v_fma_f64 v[2:3], v[2:3], v[32:33], v[80:81]
	scratch_load_b64 v[32:33], off, off offset:332 ; 8-byte Folded Reload
	s_waitcnt vmcnt(1)
	v_fma_f64 v[44:45], v[48:49], v[20:21], v[44:45]
	s_clause 0x1
	scratch_load_b64 v[48:49], off, off offset:212
	scratch_load_b64 v[20:21], off, off offset:116
	v_add_f64 v[18:19], v[44:45], -v[24:25]
	v_add_f64 v[24:25], v[56:57], -v[28:29]
	v_mul_f64 v[56:57], v[151:152], v[70:71]
	s_delay_alu instid0(VALU_DEP_3) | instskip(NEXT) | instid1(VALU_DEP_3)
	v_fma_f64 v[12:13], v[18:19], s[16:17], -v[12:13]
	v_fma_f64 v[16:17], v[24:25], s[16:17], -v[16:17]
	s_delay_alu instid0(VALU_DEP_3) | instskip(SKIP_1) | instid1(VALU_DEP_2)
	v_mul_f64 v[56:57], v[66:67], v[56:57]
	v_add_f64 v[24:25], v[158:159], v[38:39]
	v_mul_f64 v[56:57], v[169:170], v[56:57]
	s_waitcnt vmcnt(0)
	v_add_f64 v[30:31], v[30:31], -v[20:21]
	scratch_load_b64 v[20:21], off, off offset:124 ; 8-byte Folded Reload
	v_add_co_u32 v32, vcc_lo, s10, v32
	v_add_co_ci_u32_e32 v33, vcc_lo, s11, v33, vcc_lo
	v_add_co_u32 v48, vcc_lo, s10, v48
	v_add_co_ci_u32_e32 v49, vcc_lo, s11, v49, vcc_lo
	v_mul_f64 v[28:29], v[30:31], s[12:13]
	v_mul_f64 v[30:31], v[175:176], v[64:65]
	s_delay_alu instid0(VALU_DEP_1) | instskip(NEXT) | instid1(VALU_DEP_1)
	v_mul_f64 v[30:31], v[108:109], v[30:31]
	v_mul_f64 v[30:31], v[136:137], v[30:31]
	s_delay_alu instid0(VALU_DEP_1)
	v_fma_f64 v[30:31], v[52:53], v[30:31], v[46:47]
	s_waitcnt vmcnt(0)
	v_add_f64 v[2:3], v[2:3], -v[20:21]
	scratch_load_b64 v[20:21], off, off offset:164 ; 8-byte Folded Reload
	v_fma_f64 v[2:3], v[2:3], s[16:17], -v[28:29]
	v_mul_f64 v[28:29], v[58:59], v[87:88]
	s_delay_alu instid0(VALU_DEP_2) | instskip(NEXT) | instid1(VALU_DEP_2)
	v_fma_f64 v[2:3], v[189:190], v[2:3], v[24:25]
	v_mul_f64 v[28:29], v[22:23], v[28:29]
	s_delay_alu instid0(VALU_DEP_1) | instskip(NEXT) | instid1(VALU_DEP_1)
	v_mul_f64 v[28:29], v[74:75], v[28:29]
	v_fma_f64 v[28:29], v[52:53], v[28:29], v[91:92]
	s_delay_alu instid0(VALU_DEP_1)
	v_add_f64 v[28:29], v[28:29], -v[30:31]
	s_waitcnt vmcnt(0)
	v_mul_f64 v[80:81], v[20:21], s[12:13]
	scratch_load_b64 v[20:21], off, off offset:172 ; 8-byte Folded Reload
	s_waitcnt vmcnt(0)
	v_fma_f64 v[80:81], v[20:21], s[16:17], -v[80:81]
	scratch_load_b64 v[20:21], off, off offset:180 ; 8-byte Folded Reload
	s_clause 0x1
	global_load_b64 v[32:33], v[32:33], off
	global_load_b64 v[44:45], v[48:49], off
	s_clause 0x1
	scratch_load_b64 v[48:49], off, off offset:156
	scratch_load_b64 v[64:65], off, off offset:32
	v_add_f64 v[14:15], v[14:15], v[80:81]
	s_delay_alu instid0(VALU_DEP_1) | instskip(NEXT) | instid1(VALU_DEP_1)
	v_add_f64 v[14:15], v[76:77], v[14:15]
	v_fma_f64 v[12:13], v[189:190], v[12:13], v[14:15]
	s_waitcnt vmcnt(2)
	v_mul_f64 v[54:55], v[151:152], v[44:45]
	s_waitcnt vmcnt(1)
	v_mul_f64 v[48:49], v[48:49], v[32:33]
	;; [unrolled: 2-line block ×3, first 2 shown]
	v_mul_f64 v[44:45], v[64:65], v[44:45]
	v_mul_f64 v[64:65], v[64:65], v[70:71]
	;; [unrolled: 1-line block ×8, first 2 shown]
	v_fma_f64 v[36:37], v[36:37], s[16:17], -v[93:94]
	v_mul_f64 v[48:49], v[124:125], v[48:49]
	s_delay_alu instid0(VALU_DEP_3) | instskip(NEXT) | instid1(VALU_DEP_3)
	v_mul_f64 v[20:21], v[124:125], v[20:21]
	v_add_f64 v[18:19], v[40:41], v[36:37]
	s_delay_alu instid0(VALU_DEP_3) | instskip(NEXT) | instid1(VALU_DEP_2)
	v_mul_f64 v[48:49], v[6:7], v[48:49]
	v_add_f64 v[18:19], v[26:27], v[18:19]
	v_mul_f64 v[26:27], v[28:29], s[12:13]
	s_delay_alu instid0(VALU_DEP_3) | instskip(NEXT) | instid1(VALU_DEP_3)
	v_mul_f64 v[48:49], v[52:53], v[48:49]
	v_add_f64 v[16:17], v[18:19], v[16:17]
	s_delay_alu instid0(VALU_DEP_2) | instskip(SKIP_2) | instid1(VALU_DEP_2)
	v_fma_f64 v[48:49], v[118:119], v[54:55], v[48:49]
	v_mul_f64 v[54:55], v[118:119], v[32:33]
	v_mul_f64 v[32:33], v[169:170], v[32:33]
	;; [unrolled: 1-line block ×3, first 2 shown]
	s_delay_alu instid0(VALU_DEP_2) | instskip(SKIP_2) | instid1(VALU_DEP_4)
	v_fma_f64 v[6:7], v[6:7], v[32:33], v[20:21]
	v_fma_f64 v[32:33], v[52:53], v[56:57], v[48:49]
	v_add_f64 v[20:21], v[72:73], -v[85:86]
	v_mul_f64 v[54:55], v[52:53], v[54:55]
	s_delay_alu instid0(VALU_DEP_4) | instskip(NEXT) | instid1(VALU_DEP_4)
	v_add_f64 v[6:7], v[6:7], -v[89:90]
	v_add_f64 v[22:23], v[32:33], -v[34:35]
	s_delay_alu instid0(VALU_DEP_4) | instskip(NEXT) | instid1(VALU_DEP_4)
	v_mul_f64 v[20:21], v[20:21], s[12:13]
	v_fma_f64 v[44:45], v[124:125], v[44:45], v[54:55]
	s_delay_alu instid0(VALU_DEP_2) | instskip(NEXT) | instid1(VALU_DEP_2)
	v_fma_f64 v[14:15], v[6:7], s[16:17], -v[20:21]
	v_add_f64 v[10:11], v[44:45], -v[10:11]
	s_delay_alu instid0(VALU_DEP_2) | instskip(NEXT) | instid1(VALU_DEP_2)
	v_fma_f64 v[2:3], v[52:53], v[14:15], v[2:3]
	v_fma_f64 v[8:9], v[10:11], s[16:17], -v[8:9]
	v_fma_f64 v[10:11], v[22:23], s[16:17], -v[26:27]
	s_delay_alu instid0(VALU_DEP_2) | instskip(NEXT) | instid1(VALU_DEP_2)
	v_add_f64 v[8:9], v[12:13], v[8:9]
	v_add_f64 v[6:7], v[16:17], v[10:11]
	s_clause 0x3
	scratch_load_b64 v[10:11], off, off offset:364
	scratch_load_b64 v[11:12], off, off offset:372
	;; [unrolled: 1-line block ×4, first 2 shown]
	s_waitcnt vmcnt(3)
	v_subrev_nc_u32_e32 v10, s22, v10
	s_waitcnt vmcnt(2)
	v_subrev_nc_u32_e32 v11, s22, v11
	;; [unrolled: 2-line block ×4, first 2 shown]
.LBB4_11:                               ; =>This Inner Loop Header: Depth=1
	s_delay_alu instid0(VALU_DEP_1) | instskip(NEXT) | instid1(VALU_DEP_3)
	v_add_nc_u32_e32 v14, s33, v13
	v_add_nc_u32_e32 v22, s33, v12
	;; [unrolled: 1-line block ×5, first 2 shown]
	v_ashrrev_i32_e32 v15, 31, v14
	v_ashrrev_i32_e32 v23, 31, v22
	v_ashrrev_i32_e32 v25, 31, v24
	v_add_nc_u32_e32 v54, s33, v140
	v_add_nc_u32_e32 v40, s33, v116
	v_lshlrev_b64 v[26:27], 3, v[14:15]
	v_lshlrev_b64 v[68:69], 3, v[22:23]
	;; [unrolled: 1-line block ×3, first 2 shown]
	v_ashrrev_i32_e32 v49, 31, v48
	v_add_nc_u32_e32 v60, s33, v120
	v_ashrrev_i32_e32 v39, 31, v38
	v_add_co_u32 v18, vcc_lo, s4, v26
	v_add_co_ci_u32_e32 v19, vcc_lo, s5, v27, vcc_lo
	v_add_co_u32 v22, vcc_lo, s6, v68
	v_add_co_ci_u32_e32 v23, vcc_lo, s7, v69, vcc_lo
	s_clause 0x1
	global_load_b128 v[14:17], v[18:19], off offset:8
	global_load_b128 v[18:21], v[18:19], off offset:-16
	v_add_co_u32 v24, vcc_lo, s8, v68
	v_add_co_ci_u32_e32 v25, vcc_lo, s9, v69, vcc_lo
	v_add_co_u32 v72, vcc_lo, s10, v26
	v_add_co_ci_u32_e32 v73, vcc_lo, s11, v27, vcc_lo
	;; [unrolled: 2-line block ×4, first 2 shown]
	global_load_b64 v[74:75], v[22:23], off
	global_load_b64 v[76:77], v[24:25], off
	s_clause 0x3
	global_load_b128 v[22:25], v[26:27], off offset:8
	global_load_b128 v[26:29], v[26:27], off offset:-16
	global_load_b128 v[30:33], v[34:35], off offset:8
	global_load_b128 v[34:37], v[34:35], off offset:-16
	global_load_b64 v[72:73], v[72:73], off
	v_add_co_u32 v68, vcc_lo, s10, v68
	v_add_co_ci_u32_e32 v69, vcc_lo, s11, v69, vcc_lo
	v_add_nc_u32_e32 v42, s33, v128
	v_ashrrev_i32_e32 v55, 31, v54
	v_add_nc_u32_e32 v62, s33, v144
	global_load_b64 v[68:69], v[68:69], off
	v_ashrrev_i32_e32 v41, 31, v40
	v_lshlrev_b64 v[48:49], 3, v[48:49]
	v_ashrrev_i32_e32 v61, 31, v60
	v_lshlrev_b64 v[38:39], 3, v[38:39]
	;; [unrolled: 2-line block ×4, first 2 shown]
	v_add_co_u32 v70, vcc_lo, s10, v70
	v_lshlrev_b64 v[60:61], 3, v[60:61]
	v_add_co_ci_u32_e32 v71, vcc_lo, s11, v71, vcc_lo
	v_add_co_u32 v48, s2, s4, v48
	v_lshlrev_b64 v[42:43], 3, v[42:43]
	v_add_co_u32 v38, vcc_lo, s10, v38
	v_add_co_ci_u32_e64 v49, s2, s5, v49, s2
	v_lshlrev_b64 v[62:63], 3, v[62:63]
	v_add_co_ci_u32_e32 v39, vcc_lo, s11, v39, vcc_lo
	v_add_co_u32 v54, s2, s4, v54
	v_add_co_u32 v40, vcc_lo, s4, v40
	v_add_co_ci_u32_e64 v55, s2, s5, v55, s2
	v_add_co_ci_u32_e32 v41, vcc_lo, s5, v41, vcc_lo
	v_add_co_u32 v60, s2, s4, v60
	v_add_co_u32 v42, vcc_lo, s4, v42
	v_add_co_ci_u32_e64 v61, s2, s5, v61, s2
	v_add_co_ci_u32_e32 v43, vcc_lo, s5, v43, vcc_lo
	v_add_co_u32 v62, s2, s4, v62
	s_delay_alu instid0(VALU_DEP_1)
	v_add_co_ci_u32_e64 v63, s2, s5, v63, s2
	global_load_b64 v[70:71], v[70:71], off
	s_clause 0x5
	global_load_b64 v[40:41], v[40:41], off
	global_load_b64 v[42:43], v[42:43], off
	;; [unrolled: 1-line block ×6, first 2 shown]
	v_add_nc_u32_e32 v44, s33, v148
	v_add_nc_u32_e32 v46, s33, v82
	;; [unrolled: 1-line block ×5, first 2 shown]
	v_ashrrev_i32_e32 v45, 31, v44
	v_ashrrev_i32_e32 v47, 31, v46
	;; [unrolled: 1-line block ×4, first 2 shown]
	v_add_nc_u32_e32 v66, s33, v142
	v_lshlrev_b64 v[44:45], 3, v[44:45]
	v_lshlrev_b64 v[46:47], 3, v[46:47]
	v_lshlrev_b64 v[56:57], 3, v[56:57]
	v_ashrrev_i32_e32 v65, 31, v64
	v_lshlrev_b64 v[58:59], 3, v[58:59]
	v_ashrrev_i32_e32 v67, 31, v66
	v_add_co_u32 v44, vcc_lo, s4, v44
	v_add_co_ci_u32_e32 v45, vcc_lo, s5, v45, vcc_lo
	v_add_co_u32 v46, vcc_lo, s4, v46
	v_add_co_ci_u32_e32 v47, vcc_lo, s5, v47, vcc_lo
	v_lshlrev_b64 v[64:65], 3, v[64:65]
	v_add_co_u32 v56, vcc_lo, s4, v56
	v_add_co_ci_u32_e32 v57, vcc_lo, s5, v57, vcc_lo
	v_lshlrev_b64 v[66:67], 3, v[66:67]
	v_add_co_u32 v58, vcc_lo, s4, v58
	v_add_co_ci_u32_e32 v59, vcc_lo, s5, v59, vcc_lo
	v_add_co_u32 v64, vcc_lo, s4, v64
	v_add_co_ci_u32_e32 v65, vcc_lo, s5, v65, vcc_lo
	;; [unrolled: 2-line block ×3, first 2 shown]
	global_load_b64 v[38:39], v[38:39], off
	s_clause 0x5
	global_load_b64 v[44:45], v[44:45], off
	global_load_b64 v[46:47], v[46:47], off
	;; [unrolled: 1-line block ×6, first 2 shown]
	v_ashrrev_i32_e32 v165, 31, v164
	v_add_nc_u32_e32 v84, s21, v84
	v_add_nc_u32_e32 v142, s21, v142
	;; [unrolled: 1-line block ×16, first 2 shown]
	s_add_i32 s3, s3, 1
	s_delay_alu instid0(SALU_CYCLE_1)
	s_cmp_ge_i32 s3, s20
	s_waitcnt vmcnt(22)
	v_add_f64 v[16:17], v[16:17], -v[18:19]
	v_add_f64 v[14:15], v[14:15], -v[20:21]
	s_waitcnt vmcnt(20)
	v_fma_f64 v[18:19], v[74:75], 2.0, v[76:77]
	s_waitcnt vmcnt(18)
	v_add_f64 v[24:25], v[24:25], -v[26:27]
	v_add_f64 v[22:23], v[22:23], -v[28:29]
	s_waitcnt vmcnt(16)
	v_add_f64 v[20:21], v[32:33], -v[34:35]
	s_waitcnt vmcnt(15)
	v_mul_f64 v[26:27], v[74:75], v[72:73]
	v_lshlrev_b64 v[32:33], 3, v[164:165]
	v_add_f64 v[28:29], v[30:31], -v[36:37]
	v_add_nc_u32_e32 v164, -6, v164
	s_delay_alu instid0(VALU_DEP_3) | instskip(NEXT) | instid1(VALU_DEP_4)
	v_add_co_u32 v32, vcc_lo, s18, v32
	v_add_co_ci_u32_e32 v33, vcc_lo, s19, v33, vcc_lo
	global_load_b64 v[32:33], v[32:33], off
	v_mul_f64 v[16:17], v[16:17], s[12:13]
	v_mul_f64 v[30:31], v[18:19], v[72:73]
	;; [unrolled: 1-line block ×4, first 2 shown]
	s_waitcnt vmcnt(15)
	v_mul_f64 v[26:27], v[26:27], v[68:69]
	s_waitcnt vmcnt(14)
	v_mul_f64 v[36:37], v[74:75], v[70:71]
	v_mul_f64 v[18:19], v[18:19], v[70:71]
	s_waitcnt vmcnt(10)
	v_add_f64 v[34:35], v[48:49], -v[54:55]
	v_fma_f64 v[14:15], v[14:15], s[16:17], -v[16:17]
	v_add_f64 v[16:17], v[40:41], -v[42:43]
	s_waitcnt vmcnt(8)
	v_add_f64 v[40:41], v[60:61], -v[62:63]
	v_mul_f64 v[30:31], v[30:31], v[68:69]
	v_fma_f64 v[22:23], v[22:23], s[16:17], -v[24:25]
	v_fma_f64 v[20:21], v[28:29], s[16:17], -v[20:21]
	v_mul_f64 v[36:37], v[68:69], v[36:37]
	v_mul_f64 v[18:19], v[68:69], v[18:19]
	v_mul_f64 v[34:35], v[34:35], s[12:13]
	s_waitcnt vmcnt(7)
	v_mul_f64 v[28:29], v[74:75], v[38:39]
	v_mul_f64 v[38:39], v[76:77], v[38:39]
	s_waitcnt vmcnt(5)
	v_add_f64 v[42:43], v[44:45], -v[46:47]
	v_mul_f64 v[46:47], v[76:77], v[70:71]
	s_waitcnt vmcnt(3)
	v_add_f64 v[44:45], v[56:57], -v[58:59]
	s_waitcnt vmcnt(1)
	v_add_f64 v[48:49], v[64:65], -v[66:67]
	v_mul_f64 v[24:25], v[26:27], v[14:15]
	v_mul_f64 v[16:17], v[16:17], s[12:13]
	;; [unrolled: 1-line block ×9, first 2 shown]
	v_fma_f64 v[34:35], v[44:45], s[16:17], -v[34:35]
	v_mul_f64 v[24:25], v[0:1], v[24:25]
	v_fma_f64 v[16:17], v[42:43], s[16:17], -v[16:17]
	v_fma_f64 v[40:41], v[48:49], s[16:17], -v[40:41]
	v_mul_f64 v[30:31], v[0:1], v[30:31]
	v_mul_f64 v[42:43], v[0:1], v[54:55]
	;; [unrolled: 1-line block ×8, first 2 shown]
	v_fma_f64 v[14:15], v[189:190], v[30:31], v[14:15]
	v_mul_f64 v[30:31], v[189:190], v[42:43]
	v_mul_f64 v[18:19], v[4:5], v[18:19]
	v_fma_f64 v[22:23], v[46:47], v[22:23], v[24:25]
	v_mul_f64 v[24:25], v[76:77], v[72:73]
	v_mul_f64 v[42:43], v[4:5], v[44:45]
	;; [unrolled: 1-line block ×3, first 2 shown]
	v_fma_f64 v[14:15], v[189:190], v[20:21], v[14:15]
	v_fma_f64 v[20:21], v[189:190], v[48:49], v[30:31]
	;; [unrolled: 1-line block ×3, first 2 shown]
	v_mul_f64 v[22:23], v[24:25], v[68:69]
	v_mul_f64 v[24:25], v[28:29], v[40:41]
	;; [unrolled: 1-line block ×3, first 2 shown]
	v_fma_f64 v[14:15], v[52:53], v[42:43], v[14:15]
	v_fma_f64 v[20:21], v[52:53], v[36:37], v[20:21]
	;; [unrolled: 1-line block ×3, first 2 shown]
	s_delay_alu instid0(VALU_DEP_3) | instskip(NEXT) | instid1(VALU_DEP_3)
	v_fma_f64 v[14:15], v[22:23], v[34:35], v[14:15]
	v_fma_f64 v[18:19], v[52:53], v[26:27], v[20:21]
	s_delay_alu instid0(VALU_DEP_3) | instskip(SKIP_1) | instid1(VALU_DEP_3)
	v_fma_f64 v[16:17], v[52:53], v[24:25], v[16:17]
	s_waitcnt vmcnt(0)
	v_fma_f64 v[8:9], -v[32:33], v[14:15], v[8:9]
	s_delay_alu instid0(VALU_DEP_3) | instskip(NEXT) | instid1(VALU_DEP_3)
	v_fma_f64 v[2:3], -v[32:33], v[18:19], v[2:3]
	v_fma_f64 v[6:7], -v[32:33], v[16:17], v[6:7]
	s_cbranch_scc0 .LBB4_11
; %bb.12:
	s_clause 0x1
	scratch_load_b64 v[20:21], off, off offset:8
	scratch_load_b64 v[10:11], off, off offset:16
	v_mul_f64 v[0:1], v[0:1], v[4:5]
	s_load_b128 s[0:3], s[0:1], 0x38
	s_waitcnt lgkmcnt(0)
	v_mul_f64 v[8:9], v[8:9], s[2:3]
	v_mul_f64 v[6:7], v[6:7], s[2:3]
	v_mul_f64 v[2:3], v[2:3], s[2:3]
	s_waitcnt vmcnt(1)
	s_delay_alu instid0(VALU_DEP_4)
	v_div_scale_f64 v[4:5], null, v[20:21], v[20:21], v[0:1]
	s_waitcnt vmcnt(0)
	v_add_co_u32 v10, vcc_lo, s14, v10
	v_add_co_ci_u32_e32 v11, vcc_lo, s15, v11, vcc_lo
	v_div_scale_f64 v[18:19], vcc_lo, v[0:1], v[20:21], v[0:1]
	global_load_b64 v[12:13], v[10:11], off
	v_rcp_f64_e32 v[14:15], v[4:5]
	s_waitcnt_depctr 0xfff
	v_fma_f64 v[16:17], -v[4:5], v[14:15], 1.0
	s_delay_alu instid0(VALU_DEP_1) | instskip(NEXT) | instid1(VALU_DEP_1)
	v_fma_f64 v[14:15], v[14:15], v[16:17], v[14:15]
	v_fma_f64 v[16:17], -v[4:5], v[14:15], 1.0
	s_delay_alu instid0(VALU_DEP_1) | instskip(NEXT) | instid1(VALU_DEP_1)
	v_fma_f64 v[14:15], v[14:15], v[16:17], v[14:15]
	v_mul_f64 v[16:17], v[18:19], v[14:15]
	s_delay_alu instid0(VALU_DEP_1) | instskip(NEXT) | instid1(VALU_DEP_1)
	v_fma_f64 v[4:5], -v[4:5], v[16:17], v[18:19]
	v_div_fmas_f64 v[4:5], v[4:5], v[14:15], v[16:17]
	s_waitcnt vmcnt(0)
	v_mul_f64 v[12:13], v[12:13], s[0:1]
	s_delay_alu instid0(VALU_DEP_2) | instskip(NEXT) | instid1(VALU_DEP_1)
	v_div_fixup_f64 v[0:1], v[4:5], v[20:21], v[0:1]
	v_fma_f64 v[4:5], v[0:1], v[8:9], v[12:13]
	scratch_load_b64 v[8:9], off, off offset:72 ; 8-byte Folded Reload
	global_store_b64 v[10:11], v[4:5], off
	s_waitcnt vmcnt(0)
	v_add_co_u32 v8, vcc_lo, s14, v8
	v_add_co_ci_u32_e32 v9, vcc_lo, s15, v9, vcc_lo
	global_load_b64 v[4:5], v[8:9], off
	s_waitcnt vmcnt(0)
	v_mul_f64 v[4:5], v[4:5], s[0:1]
	s_delay_alu instid0(VALU_DEP_1)
	v_fma_f64 v[4:5], v[0:1], v[6:7], v[4:5]
	scratch_load_b64 v[6:7], off, off offset:108 ; 8-byte Folded Reload
	global_store_b64 v[8:9], v[4:5], off
	s_waitcnt vmcnt(0)
	v_add_co_u32 v6, vcc_lo, s14, v6
	v_add_co_ci_u32_e32 v7, vcc_lo, s15, v7, vcc_lo
	global_load_b64 v[4:5], v[6:7], off
	s_waitcnt vmcnt(0)
	v_mul_f64 v[4:5], v[4:5], s[0:1]
	s_delay_alu instid0(VALU_DEP_1)
	v_fma_f64 v[0:1], v[0:1], v[2:3], v[4:5]
	global_store_b64 v[6:7], v[0:1], off
.LBB4_13:
	s_endpgm
	.section	.rodata,"a",@progbits
	.p2align	6, 0x0
	.amdhsa_kernel _Z7kernel5iiiiiiiiiiiiiddPKdS0_S0_S0_S0_PdS0_S0_S0_S0_S0_S0_S0_
		.amdhsa_group_segment_fixed_size 0
		.amdhsa_private_segment_fixed_size 752
		.amdhsa_kernarg_size 432
		.amdhsa_user_sgpr_count 13
		.amdhsa_user_sgpr_dispatch_ptr 0
		.amdhsa_user_sgpr_queue_ptr 0
		.amdhsa_user_sgpr_kernarg_segment_ptr 1
		.amdhsa_user_sgpr_dispatch_id 0
		.amdhsa_user_sgpr_private_segment_size 0
		.amdhsa_wavefront_size32 1
		.amdhsa_uses_dynamic_stack 0
		.amdhsa_enable_private_segment 1
		.amdhsa_system_sgpr_workgroup_id_x 1
		.amdhsa_system_sgpr_workgroup_id_y 1
		.amdhsa_system_sgpr_workgroup_id_z 1
		.amdhsa_system_sgpr_workgroup_info 0
		.amdhsa_system_vgpr_workitem_id 2
		.amdhsa_next_free_vgpr 192
		.amdhsa_next_free_sgpr 43
		.amdhsa_reserve_vcc 1
		.amdhsa_float_round_mode_32 0
		.amdhsa_float_round_mode_16_64 0
		.amdhsa_float_denorm_mode_32 3
		.amdhsa_float_denorm_mode_16_64 3
		.amdhsa_dx10_clamp 1
		.amdhsa_ieee_mode 1
		.amdhsa_fp16_overflow 0
		.amdhsa_workgroup_processor_mode 1
		.amdhsa_memory_ordered 1
		.amdhsa_forward_progress 0
		.amdhsa_shared_vgpr_count 0
		.amdhsa_exception_fp_ieee_invalid_op 0
		.amdhsa_exception_fp_denorm_src 0
		.amdhsa_exception_fp_ieee_div_zero 0
		.amdhsa_exception_fp_ieee_overflow 0
		.amdhsa_exception_fp_ieee_underflow 0
		.amdhsa_exception_fp_ieee_inexact 0
		.amdhsa_exception_int_div_zero 0
	.end_amdhsa_kernel
	.text
.Lfunc_end4:
	.size	_Z7kernel5iiiiiiiiiiiiiddPKdS0_S0_S0_S0_PdS0_S0_S0_S0_S0_S0_S0_, .Lfunc_end4-_Z7kernel5iiiiiiiiiiiiiddPKdS0_S0_S0_S0_PdS0_S0_S0_S0_S0_S0_S0_
                                        ; -- End function
	.section	.AMDGPU.csdata,"",@progbits
; Kernel info:
; codeLenInByte = 16728
; NumSgprs: 45
; NumVgprs: 192
; ScratchSize: 752
; MemoryBound: 0
; FloatMode: 240
; IeeeMode: 1
; LDSByteSize: 0 bytes/workgroup (compile time only)
; SGPRBlocks: 5
; VGPRBlocks: 23
; NumSGPRsForWavesPerEU: 45
; NumVGPRsForWavesPerEU: 192
; Occupancy: 8
; WaveLimiterHint : 0
; COMPUTE_PGM_RSRC2:SCRATCH_EN: 1
; COMPUTE_PGM_RSRC2:USER_SGPR: 13
; COMPUTE_PGM_RSRC2:TRAP_HANDLER: 0
; COMPUTE_PGM_RSRC2:TGID_X_EN: 1
; COMPUTE_PGM_RSRC2:TGID_Y_EN: 1
; COMPUTE_PGM_RSRC2:TGID_Z_EN: 1
; COMPUTE_PGM_RSRC2:TIDIG_COMP_CNT: 2
	.text
	.p2alignl 7, 3214868480
	.fill 96, 4, 3214868480
	.type	__hip_cuid_231d34fa32691207,@object ; @__hip_cuid_231d34fa32691207
	.section	.bss,"aw",@nobits
	.globl	__hip_cuid_231d34fa32691207
__hip_cuid_231d34fa32691207:
	.byte	0                               ; 0x0
	.size	__hip_cuid_231d34fa32691207, 1

	.ident	"AMD clang version 19.0.0git (https://github.com/RadeonOpenCompute/llvm-project roc-6.4.0 25133 c7fe45cf4b819c5991fe208aaa96edf142730f1d)"
	.section	".note.GNU-stack","",@progbits
	.addrsig
	.addrsig_sym __hip_cuid_231d34fa32691207
	.amdgpu_metadata
---
amdhsa.kernels:
  - .args:
      - .offset:         0
        .size:           4
        .value_kind:     by_value
      - .offset:         4
        .size:           4
        .value_kind:     by_value
      - .offset:         8
        .size:           4
        .value_kind:     by_value
      - .offset:         12
        .size:           4
        .value_kind:     by_value
      - .offset:         16
        .size:           4
        .value_kind:     by_value
      - .offset:         20
        .size:           4
        .value_kind:     by_value
      - .offset:         24
        .size:           4
        .value_kind:     by_value
      - .offset:         28
        .size:           4
        .value_kind:     by_value
      - .offset:         32
        .size:           4
        .value_kind:     by_value
      - .offset:         36
        .size:           4
        .value_kind:     by_value
      - .offset:         40
        .size:           4
        .value_kind:     by_value
      - .offset:         44
        .size:           4
        .value_kind:     by_value
      - .offset:         48
        .size:           8
        .value_kind:     by_value
      - .offset:         56
        .size:           8
        .value_kind:     by_value
      - .actual_access:  read_only
        .address_space:  global
        .offset:         64
        .size:           8
        .value_kind:     global_buffer
      - .actual_access:  read_only
        .address_space:  global
        .offset:         72
        .size:           8
        .value_kind:     global_buffer
      - .actual_access:  read_only
        .address_space:  global
        .offset:         80
        .size:           8
        .value_kind:     global_buffer
      - .actual_access:  read_only
        .address_space:  global
        .offset:         88
        .size:           8
        .value_kind:     global_buffer
      - .actual_access:  read_only
        .address_space:  global
        .offset:         96
        .size:           8
        .value_kind:     global_buffer
      - .address_space:  global
        .offset:         104
        .size:           8
        .value_kind:     global_buffer
      - .actual_access:  read_only
        .address_space:  global
        .offset:         112
        .size:           8
        .value_kind:     global_buffer
      - .actual_access:  read_only
        .address_space:  global
        .offset:         120
        .size:           8
        .value_kind:     global_buffer
      - .actual_access:  read_only
        .address_space:  global
        .offset:         128
        .size:           8
        .value_kind:     global_buffer
      - .actual_access:  read_only
        .address_space:  global
        .offset:         136
        .size:           8
        .value_kind:     global_buffer
      - .actual_access:  read_only
        .address_space:  global
        .offset:         144
        .size:           8
        .value_kind:     global_buffer
      - .actual_access:  read_only
        .address_space:  global
        .offset:         152
        .size:           8
        .value_kind:     global_buffer
      - .actual_access:  read_only
        .address_space:  global
        .offset:         160
        .size:           8
        .value_kind:     global_buffer
      - .offset:         168
        .size:           4
        .value_kind:     hidden_block_count_x
      - .offset:         172
        .size:           4
        .value_kind:     hidden_block_count_y
      - .offset:         176
        .size:           4
        .value_kind:     hidden_block_count_z
      - .offset:         180
        .size:           2
        .value_kind:     hidden_group_size_x
      - .offset:         182
        .size:           2
        .value_kind:     hidden_group_size_y
      - .offset:         184
        .size:           2
        .value_kind:     hidden_group_size_z
      - .offset:         186
        .size:           2
        .value_kind:     hidden_remainder_x
      - .offset:         188
        .size:           2
        .value_kind:     hidden_remainder_y
      - .offset:         190
        .size:           2
        .value_kind:     hidden_remainder_z
      - .offset:         208
        .size:           8
        .value_kind:     hidden_global_offset_x
      - .offset:         216
        .size:           8
        .value_kind:     hidden_global_offset_y
      - .offset:         224
        .size:           8
        .value_kind:     hidden_global_offset_z
      - .offset:         232
        .size:           2
        .value_kind:     hidden_grid_dims
    .group_segment_fixed_size: 0
    .kernarg_segment_align: 8
    .kernarg_segment_size: 424
    .language:       OpenCL C
    .language_version:
      - 2
      - 0
    .max_flat_workgroup_size: 1024
    .name:           _Z7kernel1iiiiiiiiiiiiddPKdS0_S0_S0_S0_PdS0_S0_S0_S0_S0_S0_S0_
    .private_segment_fixed_size: 636
    .sgpr_count:     46
    .sgpr_spill_count: 0
    .symbol:         _Z7kernel1iiiiiiiiiiiiddPKdS0_S0_S0_S0_PdS0_S0_S0_S0_S0_S0_S0_.kd
    .uniform_work_group_size: 1
    .uses_dynamic_stack: false
    .vgpr_count:     192
    .vgpr_spill_count: 176
    .wavefront_size: 32
    .workgroup_processor_mode: 1
  - .args:
      - .offset:         0
        .size:           4
        .value_kind:     by_value
      - .offset:         4
        .size:           4
        .value_kind:     by_value
      - .offset:         8
        .size:           4
        .value_kind:     by_value
      - .offset:         12
        .size:           4
        .value_kind:     by_value
      - .offset:         16
        .size:           4
        .value_kind:     by_value
      - .offset:         20
        .size:           4
        .value_kind:     by_value
      - .offset:         24
        .size:           4
        .value_kind:     by_value
      - .offset:         28
        .size:           4
        .value_kind:     by_value
      - .offset:         32
        .size:           4
        .value_kind:     by_value
      - .offset:         36
        .size:           4
        .value_kind:     by_value
      - .offset:         40
        .size:           4
        .value_kind:     by_value
      - .offset:         44
        .size:           4
        .value_kind:     by_value
      - .offset:         48
        .size:           8
        .value_kind:     by_value
      - .offset:         56
        .size:           8
        .value_kind:     by_value
      - .actual_access:  read_only
        .address_space:  global
        .offset:         64
        .size:           8
        .value_kind:     global_buffer
      - .actual_access:  read_only
        .address_space:  global
        .offset:         72
        .size:           8
        .value_kind:     global_buffer
      - .actual_access:  read_only
        .address_space:  global
        .offset:         80
        .size:           8
        .value_kind:     global_buffer
      - .actual_access:  read_only
        .address_space:  global
        .offset:         88
        .size:           8
        .value_kind:     global_buffer
      - .actual_access:  read_only
        .address_space:  global
        .offset:         96
        .size:           8
        .value_kind:     global_buffer
      - .address_space:  global
        .offset:         104
        .size:           8
        .value_kind:     global_buffer
      - .actual_access:  read_only
        .address_space:  global
        .offset:         112
        .size:           8
        .value_kind:     global_buffer
      - .actual_access:  read_only
        .address_space:  global
        .offset:         120
        .size:           8
        .value_kind:     global_buffer
      - .actual_access:  read_only
        .address_space:  global
        .offset:         128
        .size:           8
        .value_kind:     global_buffer
      - .actual_access:  read_only
        .address_space:  global
        .offset:         136
        .size:           8
        .value_kind:     global_buffer
      - .actual_access:  read_only
        .address_space:  global
        .offset:         144
        .size:           8
        .value_kind:     global_buffer
      - .actual_access:  read_only
        .address_space:  global
        .offset:         152
        .size:           8
        .value_kind:     global_buffer
      - .actual_access:  read_only
        .address_space:  global
        .offset:         160
        .size:           8
        .value_kind:     global_buffer
      - .offset:         168
        .size:           4
        .value_kind:     hidden_block_count_x
      - .offset:         172
        .size:           4
        .value_kind:     hidden_block_count_y
      - .offset:         176
        .size:           4
        .value_kind:     hidden_block_count_z
      - .offset:         180
        .size:           2
        .value_kind:     hidden_group_size_x
      - .offset:         182
        .size:           2
        .value_kind:     hidden_group_size_y
      - .offset:         184
        .size:           2
        .value_kind:     hidden_group_size_z
      - .offset:         186
        .size:           2
        .value_kind:     hidden_remainder_x
      - .offset:         188
        .size:           2
        .value_kind:     hidden_remainder_y
      - .offset:         190
        .size:           2
        .value_kind:     hidden_remainder_z
      - .offset:         208
        .size:           8
        .value_kind:     hidden_global_offset_x
      - .offset:         216
        .size:           8
        .value_kind:     hidden_global_offset_y
      - .offset:         224
        .size:           8
        .value_kind:     hidden_global_offset_z
      - .offset:         232
        .size:           2
        .value_kind:     hidden_grid_dims
    .group_segment_fixed_size: 0
    .kernarg_segment_align: 8
    .kernarg_segment_size: 424
    .language:       OpenCL C
    .language_version:
      - 2
      - 0
    .max_flat_workgroup_size: 1024
    .name:           _Z7kernel2iiiiiiiiiiiiddPKdS0_S0_S0_S0_PdS0_S0_S0_S0_S0_S0_S0_
    .private_segment_fixed_size: 404
    .sgpr_count:     30
    .sgpr_spill_count: 0
    .symbol:         _Z7kernel2iiiiiiiiiiiiddPKdS0_S0_S0_S0_PdS0_S0_S0_S0_S0_S0_S0_.kd
    .uniform_work_group_size: 1
    .uses_dynamic_stack: false
    .vgpr_count:     192
    .vgpr_spill_count: 105
    .wavefront_size: 32
    .workgroup_processor_mode: 1
  - .args:
      - .offset:         0
        .size:           4
        .value_kind:     by_value
      - .offset:         4
        .size:           4
        .value_kind:     by_value
      - .offset:         8
        .size:           4
        .value_kind:     by_value
      - .offset:         12
        .size:           4
        .value_kind:     by_value
      - .offset:         16
        .size:           4
        .value_kind:     by_value
      - .offset:         20
        .size:           4
        .value_kind:     by_value
      - .offset:         24
        .size:           4
        .value_kind:     by_value
      - .offset:         28
        .size:           4
        .value_kind:     by_value
      - .offset:         32
        .size:           4
        .value_kind:     by_value
      - .offset:         36
        .size:           4
        .value_kind:     by_value
      - .offset:         40
        .size:           4
        .value_kind:     by_value
      - .offset:         44
        .size:           4
        .value_kind:     by_value
      - .offset:         48
        .size:           8
        .value_kind:     by_value
      - .offset:         56
        .size:           8
        .value_kind:     by_value
      - .actual_access:  read_only
        .address_space:  global
        .offset:         64
        .size:           8
        .value_kind:     global_buffer
      - .actual_access:  read_only
        .address_space:  global
        .offset:         72
        .size:           8
        .value_kind:     global_buffer
      - .actual_access:  read_only
        .address_space:  global
        .offset:         80
        .size:           8
        .value_kind:     global_buffer
      - .actual_access:  read_only
        .address_space:  global
        .offset:         88
        .size:           8
        .value_kind:     global_buffer
      - .actual_access:  read_only
        .address_space:  global
        .offset:         96
        .size:           8
        .value_kind:     global_buffer
      - .address_space:  global
        .offset:         104
        .size:           8
        .value_kind:     global_buffer
      - .actual_access:  read_only
        .address_space:  global
        .offset:         112
        .size:           8
        .value_kind:     global_buffer
      - .actual_access:  read_only
        .address_space:  global
        .offset:         120
        .size:           8
        .value_kind:     global_buffer
      - .actual_access:  read_only
        .address_space:  global
        .offset:         128
        .size:           8
        .value_kind:     global_buffer
      - .actual_access:  read_only
        .address_space:  global
        .offset:         136
        .size:           8
        .value_kind:     global_buffer
      - .actual_access:  read_only
        .address_space:  global
        .offset:         144
        .size:           8
        .value_kind:     global_buffer
      - .actual_access:  read_only
        .address_space:  global
        .offset:         152
        .size:           8
        .value_kind:     global_buffer
      - .actual_access:  read_only
        .address_space:  global
        .offset:         160
        .size:           8
        .value_kind:     global_buffer
      - .offset:         168
        .size:           4
        .value_kind:     hidden_block_count_x
      - .offset:         172
        .size:           4
        .value_kind:     hidden_block_count_y
      - .offset:         176
        .size:           4
        .value_kind:     hidden_block_count_z
      - .offset:         180
        .size:           2
        .value_kind:     hidden_group_size_x
      - .offset:         182
        .size:           2
        .value_kind:     hidden_group_size_y
      - .offset:         184
        .size:           2
        .value_kind:     hidden_group_size_z
      - .offset:         186
        .size:           2
        .value_kind:     hidden_remainder_x
      - .offset:         188
        .size:           2
        .value_kind:     hidden_remainder_y
      - .offset:         190
        .size:           2
        .value_kind:     hidden_remainder_z
      - .offset:         208
        .size:           8
        .value_kind:     hidden_global_offset_x
      - .offset:         216
        .size:           8
        .value_kind:     hidden_global_offset_y
      - .offset:         224
        .size:           8
        .value_kind:     hidden_global_offset_z
      - .offset:         232
        .size:           2
        .value_kind:     hidden_grid_dims
    .group_segment_fixed_size: 0
    .kernarg_segment_align: 8
    .kernarg_segment_size: 424
    .language:       OpenCL C
    .language_version:
      - 2
      - 0
    .max_flat_workgroup_size: 1024
    .name:           _Z7kernel3iiiiiiiiiiiiddPKdS0_S0_S0_S0_PdS0_S0_S0_S0_S0_S0_S0_
    .private_segment_fixed_size: 344
    .sgpr_count:     30
    .sgpr_spill_count: 0
    .symbol:         _Z7kernel3iiiiiiiiiiiiddPKdS0_S0_S0_S0_PdS0_S0_S0_S0_S0_S0_S0_.kd
    .uniform_work_group_size: 1
    .uses_dynamic_stack: false
    .vgpr_count:     192
    .vgpr_spill_count: 93
    .wavefront_size: 32
    .workgroup_processor_mode: 1
  - .args:
      - .offset:         0
        .size:           4
        .value_kind:     by_value
      - .offset:         4
        .size:           4
        .value_kind:     by_value
      - .offset:         8
        .size:           4
        .value_kind:     by_value
      - .offset:         12
        .size:           4
        .value_kind:     by_value
      - .offset:         16
        .size:           4
        .value_kind:     by_value
      - .offset:         20
        .size:           4
        .value_kind:     by_value
      - .offset:         24
        .size:           4
        .value_kind:     by_value
      - .offset:         28
        .size:           4
        .value_kind:     by_value
      - .offset:         32
        .size:           4
        .value_kind:     by_value
      - .offset:         36
        .size:           4
        .value_kind:     by_value
      - .offset:         40
        .size:           4
        .value_kind:     by_value
      - .offset:         44
        .size:           4
        .value_kind:     by_value
      - .offset:         48
        .size:           8
        .value_kind:     by_value
      - .offset:         56
        .size:           8
        .value_kind:     by_value
      - .actual_access:  read_only
        .address_space:  global
        .offset:         64
        .size:           8
        .value_kind:     global_buffer
      - .actual_access:  read_only
        .address_space:  global
        .offset:         72
        .size:           8
        .value_kind:     global_buffer
      - .actual_access:  read_only
        .address_space:  global
        .offset:         80
        .size:           8
        .value_kind:     global_buffer
      - .actual_access:  read_only
        .address_space:  global
        .offset:         88
        .size:           8
        .value_kind:     global_buffer
      - .actual_access:  read_only
        .address_space:  global
        .offset:         96
        .size:           8
        .value_kind:     global_buffer
      - .address_space:  global
        .offset:         104
        .size:           8
        .value_kind:     global_buffer
      - .actual_access:  read_only
        .address_space:  global
        .offset:         112
        .size:           8
        .value_kind:     global_buffer
      - .actual_access:  read_only
        .address_space:  global
        .offset:         120
        .size:           8
        .value_kind:     global_buffer
      - .actual_access:  read_only
        .address_space:  global
        .offset:         128
        .size:           8
        .value_kind:     global_buffer
      - .actual_access:  read_only
        .address_space:  global
        .offset:         136
        .size:           8
        .value_kind:     global_buffer
      - .actual_access:  read_only
        .address_space:  global
        .offset:         144
        .size:           8
        .value_kind:     global_buffer
      - .actual_access:  read_only
        .address_space:  global
        .offset:         152
        .size:           8
        .value_kind:     global_buffer
      - .actual_access:  read_only
        .address_space:  global
        .offset:         160
        .size:           8
        .value_kind:     global_buffer
      - .offset:         168
        .size:           4
        .value_kind:     hidden_block_count_x
      - .offset:         172
        .size:           4
        .value_kind:     hidden_block_count_y
      - .offset:         176
        .size:           4
        .value_kind:     hidden_block_count_z
      - .offset:         180
        .size:           2
        .value_kind:     hidden_group_size_x
      - .offset:         182
        .size:           2
        .value_kind:     hidden_group_size_y
      - .offset:         184
        .size:           2
        .value_kind:     hidden_group_size_z
      - .offset:         186
        .size:           2
        .value_kind:     hidden_remainder_x
      - .offset:         188
        .size:           2
        .value_kind:     hidden_remainder_y
      - .offset:         190
        .size:           2
        .value_kind:     hidden_remainder_z
      - .offset:         208
        .size:           8
        .value_kind:     hidden_global_offset_x
      - .offset:         216
        .size:           8
        .value_kind:     hidden_global_offset_y
      - .offset:         224
        .size:           8
        .value_kind:     hidden_global_offset_z
      - .offset:         232
        .size:           2
        .value_kind:     hidden_grid_dims
    .group_segment_fixed_size: 0
    .kernarg_segment_align: 8
    .kernarg_segment_size: 424
    .language:       OpenCL C
    .language_version:
      - 2
      - 0
    .max_flat_workgroup_size: 1024
    .name:           _Z7kernel4iiiiiiiiiiiiddPKdS0_S0_S0_S0_PdS0_S0_S0_S0_S0_S0_S0_
    .private_segment_fixed_size: 36
    .sgpr_count:     30
    .sgpr_spill_count: 0
    .symbol:         _Z7kernel4iiiiiiiiiiiiddPKdS0_S0_S0_S0_PdS0_S0_S0_S0_S0_S0_S0_.kd
    .uniform_work_group_size: 1
    .uses_dynamic_stack: false
    .vgpr_count:     192
    .vgpr_spill_count: 8
    .wavefront_size: 32
    .workgroup_processor_mode: 1
  - .args:
      - .offset:         0
        .size:           4
        .value_kind:     by_value
      - .offset:         4
        .size:           4
        .value_kind:     by_value
      - .offset:         8
        .size:           4
        .value_kind:     by_value
      - .offset:         12
        .size:           4
        .value_kind:     by_value
      - .offset:         16
        .size:           4
        .value_kind:     by_value
      - .offset:         20
        .size:           4
        .value_kind:     by_value
      - .offset:         24
        .size:           4
        .value_kind:     by_value
      - .offset:         28
        .size:           4
        .value_kind:     by_value
      - .offset:         32
        .size:           4
        .value_kind:     by_value
      - .offset:         36
        .size:           4
        .value_kind:     by_value
      - .offset:         40
        .size:           4
        .value_kind:     by_value
      - .offset:         44
        .size:           4
        .value_kind:     by_value
      - .offset:         48
        .size:           4
        .value_kind:     by_value
      - .offset:         56
        .size:           8
        .value_kind:     by_value
      - .offset:         64
        .size:           8
        .value_kind:     by_value
      - .actual_access:  read_only
        .address_space:  global
        .offset:         72
        .size:           8
        .value_kind:     global_buffer
      - .actual_access:  read_only
        .address_space:  global
        .offset:         80
        .size:           8
        .value_kind:     global_buffer
      - .actual_access:  read_only
        .address_space:  global
        .offset:         88
        .size:           8
        .value_kind:     global_buffer
      - .actual_access:  read_only
        .address_space:  global
        .offset:         96
        .size:           8
        .value_kind:     global_buffer
      - .actual_access:  read_only
        .address_space:  global
        .offset:         104
        .size:           8
        .value_kind:     global_buffer
      - .address_space:  global
        .offset:         112
        .size:           8
        .value_kind:     global_buffer
      - .actual_access:  read_only
        .address_space:  global
        .offset:         120
        .size:           8
        .value_kind:     global_buffer
      - .actual_access:  read_only
        .address_space:  global
        .offset:         128
        .size:           8
        .value_kind:     global_buffer
      - .actual_access:  read_only
        .address_space:  global
        .offset:         136
        .size:           8
        .value_kind:     global_buffer
      - .actual_access:  read_only
        .address_space:  global
        .offset:         144
        .size:           8
        .value_kind:     global_buffer
      - .actual_access:  read_only
        .address_space:  global
        .offset:         152
        .size:           8
        .value_kind:     global_buffer
      - .actual_access:  read_only
        .address_space:  global
        .offset:         160
        .size:           8
        .value_kind:     global_buffer
      - .actual_access:  read_only
        .address_space:  global
        .offset:         168
        .size:           8
        .value_kind:     global_buffer
      - .offset:         176
        .size:           4
        .value_kind:     hidden_block_count_x
      - .offset:         180
        .size:           4
        .value_kind:     hidden_block_count_y
      - .offset:         184
        .size:           4
        .value_kind:     hidden_block_count_z
      - .offset:         188
        .size:           2
        .value_kind:     hidden_group_size_x
      - .offset:         190
        .size:           2
        .value_kind:     hidden_group_size_y
      - .offset:         192
        .size:           2
        .value_kind:     hidden_group_size_z
      - .offset:         194
        .size:           2
        .value_kind:     hidden_remainder_x
      - .offset:         196
        .size:           2
        .value_kind:     hidden_remainder_y
      - .offset:         198
        .size:           2
        .value_kind:     hidden_remainder_z
      - .offset:         216
        .size:           8
        .value_kind:     hidden_global_offset_x
      - .offset:         224
        .size:           8
        .value_kind:     hidden_global_offset_y
      - .offset:         232
        .size:           8
        .value_kind:     hidden_global_offset_z
      - .offset:         240
        .size:           2
        .value_kind:     hidden_grid_dims
    .group_segment_fixed_size: 0
    .kernarg_segment_align: 8
    .kernarg_segment_size: 432
    .language:       OpenCL C
    .language_version:
      - 2
      - 0
    .max_flat_workgroup_size: 1024
    .name:           _Z7kernel5iiiiiiiiiiiiiddPKdS0_S0_S0_S0_PdS0_S0_S0_S0_S0_S0_S0_
    .private_segment_fixed_size: 752
    .sgpr_count:     45
    .sgpr_spill_count: 0
    .symbol:         _Z7kernel5iiiiiiiiiiiiiddPKdS0_S0_S0_S0_PdS0_S0_S0_S0_S0_S0_S0_.kd
    .uniform_work_group_size: 1
    .uses_dynamic_stack: false
    .vgpr_count:     192
    .vgpr_spill_count: 201
    .wavefront_size: 32
    .workgroup_processor_mode: 1
amdhsa.target:   amdgcn-amd-amdhsa--gfx1100
amdhsa.version:
  - 1
  - 2
...

	.end_amdgpu_metadata
